;; amdgpu-corpus repo=ROCm/rocFFT kind=compiled arch=gfx950 opt=O3
	.text
	.amdgcn_target "amdgcn-amd-amdhsa--gfx950"
	.amdhsa_code_object_version 6
	.protected	bluestein_single_fwd_len416_dim1_dp_op_CI_CI ; -- Begin function bluestein_single_fwd_len416_dim1_dp_op_CI_CI
	.globl	bluestein_single_fwd_len416_dim1_dp_op_CI_CI
	.p2align	8
	.type	bluestein_single_fwd_len416_dim1_dp_op_CI_CI,@function
bluestein_single_fwd_len416_dim1_dp_op_CI_CI: ; @bluestein_single_fwd_len416_dim1_dp_op_CI_CI
; %bb.0:
	s_load_dwordx4 s[16:19], s[0:1], 0x28
	v_lshrrev_b32_e32 v1, 5, v0
	v_lshl_or_b32 v206, s2, 1, v1
	v_mov_b32_e32 v1, 0
	v_mov_b32_e32 v207, v1
	s_waitcnt lgkmcnt(0)
	v_cmp_gt_u64_e32 vcc, s[16:17], v[206:207]
	s_and_saveexec_b64 s[2:3], vcc
	s_cbranch_execz .LBB0_18
; %bb.1:
	s_load_dwordx4 s[4:7], s[0:1], 0x18
	s_load_dwordx4 s[8:11], s[0:1], 0x0
	v_and_b32_e32 v207, 31, v0
	v_mov_b32_e32 v2, s18
	v_mov_b32_e32 v3, s19
	s_waitcnt lgkmcnt(0)
	s_load_dwordx4 s[12:15], s[4:5], 0x0
	v_lshlrev_b32_e32 v230, 4, v207
	global_load_dwordx4 v[110:113], v230, s[8:9]
	v_and_b32_e32 v0, 32, v0
	v_cmp_ne_u32_e32 vcc, 0, v0
	s_waitcnt lgkmcnt(0)
	v_mad_u64_u32 v[4:5], s[2:3], s14, v206, 0
	v_mov_b32_e32 v8, v5
	v_mad_u64_u32 v[6:7], s[2:3], s12, v207, 0
	v_mad_u64_u32 v[8:9], s[2:3], s15, v206, v[8:9]
	v_mov_b32_e32 v5, v8
	v_mov_b32_e32 v8, v7
	v_mad_u64_u32 v[8:9], s[2:3], s13, v207, v[8:9]
	v_mov_b32_e32 v7, v8
	v_lshl_add_u64 v[2:3], v[4:5], 4, v[2:3]
	v_lshl_add_u64 v[6:7], v[6:7], 4, v[2:3]
	s_lshl_b64 s[2:3], s[12:13], 9
	global_load_dwordx4 v[54:57], v[6:7], off
	v_lshl_add_u64 v[6:7], v[6:7], 0, s[2:3]
	global_load_dwordx4 v[22:25], v230, s[8:9] offset:512
	global_load_dwordx4 v[58:61], v[6:7], off
	v_lshl_add_u64 v[10:11], v[6:7], 0, s[2:3]
	global_load_dwordx4 v[62:65], v[10:11], off
	global_load_dwordx4 v[6:9], v230, s[8:9] offset:1024
	v_lshl_add_u64 v[10:11], v[10:11], 0, s[2:3]
	global_load_dwordx4 v[26:29], v230, s[8:9] offset:1536
	global_load_dwordx4 v[66:69], v[10:11], off
	v_lshl_add_u64 v[18:19], v[10:11], 0, s[2:3]
	global_load_dwordx4 v[70:73], v[18:19], off
	global_load_dwordx4 v[10:13], v230, s[8:9] offset:2048
	global_load_dwordx4 v[14:17], v230, s[8:9] offset:2560
	v_lshl_add_u64 v[18:19], v[18:19], 0, s[2:3]
	global_load_dwordx4 v[74:77], v[18:19], off
	v_lshl_add_u64 v[30:31], v[18:19], 0, s[2:3]
	global_load_dwordx4 v[78:81], v[30:31], off
	global_load_dwordx4 v[34:37], v230, s[8:9] offset:3072
	global_load_dwordx4 v[18:21], v230, s[8:9] offset:3584
	v_lshl_add_u64 v[30:31], v[30:31], 0, s[2:3]
	global_load_dwordx4 v[82:85], v[30:31], off
	v_or_b32_e32 v2, 0x100, v207
	v_lshlrev_b32_e32 v232, 4, v2
	v_lshl_add_u64 v[42:43], v[30:31], 0, s[2:3]
	global_load_dwordx4 v[38:41], v232, s[8:9]
	global_load_dwordx4 v[86:89], v[42:43], off
	v_or_b32_e32 v2, 0x120, v207
	v_lshlrev_b32_e32 v242, 4, v2
	v_lshl_add_u64 v[42:43], v[42:43], 0, s[2:3]
	global_load_dwordx4 v[30:33], v242, s[8:9]
	;; [unrolled: 5-line block ×3, first 2 shown]
	global_load_dwordx4 v[94:97], v[50:51], off
	v_or_b32_e32 v2, 0x160, v207
	v_lshlrev_b32_e32 v238, 4, v2
	global_load_dwordx4 v[42:45], v238, s[8:9]
	v_lshl_add_u64 v[102:103], v[50:51], 0, s[2:3]
	global_load_dwordx4 v[98:101], v[102:103], off
	v_or_b32_e32 v2, 0x180, v207
	v_lshlrev_b32_e32 v231, 4, v2
	v_lshl_add_u64 v[102:103], v[102:103], 0, s[2:3]
	global_load_dwordx4 v[50:53], v231, s[8:9]
	v_mov_b32_e32 v2, 0x1a0
	global_load_dwordx4 v[102:105], v[102:103], off
	v_cndmask_b32_e32 v243, 0, v2, vcc
	v_or_b32_e32 v0, v243, v207
	v_lshl_or_b32 v226, v243, 4, v230
	v_lshlrev_b32_e32 v227, 4, v0
	s_load_dwordx4 s[4:7], s[6:7], 0x0
	s_mov_b32 s26, 0x42a4c3d2
	s_mov_b32 s36, 0x66966769
	;; [unrolled: 1-line block ×5, first 2 shown]
	s_load_dwordx2 s[2:3], s[0:1], 0x38
	s_mov_b32 s17, 0xbfddbe06
	s_mov_b32 s16, 0x4267c47c
	s_mov_b32 s14, 0xe00740e9
	s_mov_b32 s27, 0xbfea55e2
	s_mov_b32 s12, 0x1ea71119
	s_mov_b32 s37, 0xbfefc445
	s_mov_b32 s0, 0xebaa3ed8
	s_mov_b32 s21, 0xbfedeba7
	s_mov_b32 s18, 0xb2365da1
	s_mov_b32 s25, 0xbfe5384d
	s_waitcnt vmcnt(25)
	v_accvgpr_write_b32 a0, v110
	v_accvgpr_write_b32 a1, v111
	;; [unrolled: 1-line block ×4, first 2 shown]
	s_mov_b32 s22, 0xd0032e0c
	s_mov_b32 s35, 0xbfcea1e5
	;; [unrolled: 1-line block ×14, first 2 shown]
	s_waitcnt vmcnt(24)
	v_mul_f64 v[106:107], v[56:57], v[112:113]
	v_mul_f64 v[108:109], v[54:55], v[112:113]
	v_fmac_f64_e32 v[106:107], v[54:55], v[110:111]
	v_fma_f64 v[108:109], v[56:57], v[110:111], -v[108:109]
	s_waitcnt vmcnt(22)
	v_mul_f64 v[54:55], v[60:61], v[24:25]
	v_mul_f64 v[56:57], v[58:59], v[24:25]
	v_fmac_f64_e32 v[54:55], v[58:59], v[22:23]
	v_fma_f64 v[56:57], v[60:61], v[22:23], -v[56:57]
	ds_write_b128 v227, v[106:109]
	ds_write_b128 v226, v[54:57] offset:512
	s_waitcnt vmcnt(18)
	v_mul_f64 v[54:55], v[68:69], v[28:29]
	v_mul_f64 v[56:57], v[66:67], v[28:29]
	v_fmac_f64_e32 v[54:55], v[66:67], v[26:27]
	v_fma_f64 v[56:57], v[68:69], v[26:27], -v[56:57]
	ds_write_b128 v226, v[54:57] offset:1536
	s_waitcnt vmcnt(14)
	v_mul_f64 v[54:55], v[76:77], v[16:17]
	v_mul_f64 v[56:57], v[74:75], v[16:17]
	v_fmac_f64_e32 v[54:55], v[74:75], v[14:15]
	v_fma_f64 v[56:57], v[76:77], v[14:15], -v[56:57]
	;; [unrolled: 6-line block ×7, first 2 shown]
	v_mul_f64 v[58:59], v[64:65], v[8:9]
	v_mul_f64 v[60:61], v[62:63], v[8:9]
	ds_write_b128 v226, v[54:57] offset:5120
	s_waitcnt vmcnt(2)
	v_mul_f64 v[54:55], v[100:101], v[44:45]
	v_mul_f64 v[56:57], v[98:99], v[44:45]
	v_fmac_f64_e32 v[58:59], v[62:63], v[6:7]
	v_fma_f64 v[60:61], v[64:65], v[6:7], -v[60:61]
	v_fmac_f64_e32 v[54:55], v[98:99], v[42:43]
	v_fma_f64 v[56:57], v[100:101], v[42:43], -v[56:57]
	ds_write_b128 v226, v[58:61] offset:1024
	v_mul_f64 v[58:59], v[72:73], v[12:13]
	v_mul_f64 v[60:61], v[70:71], v[12:13]
	ds_write_b128 v226, v[54:57] offset:5632
	s_waitcnt vmcnt(0)
	v_mul_f64 v[54:55], v[104:105], v[52:53]
	v_mul_f64 v[56:57], v[102:103], v[52:53]
	v_fmac_f64_e32 v[58:59], v[70:71], v[10:11]
	v_fma_f64 v[60:61], v[72:73], v[10:11], -v[60:61]
	v_fmac_f64_e32 v[54:55], v[102:103], v[50:51]
	v_fma_f64 v[56:57], v[104:105], v[50:51], -v[56:57]
	ds_write_b128 v226, v[58:61] offset:2048
	ds_write_b128 v226, v[54:57] offset:6144
	s_waitcnt lgkmcnt(0)
	; wave barrier
	s_waitcnt lgkmcnt(0)
	ds_read_b128 v[86:89], v227
	ds_read_b128 v[98:101], v226 offset:512
	ds_read_b128 v[94:97], v226 offset:1024
	;; [unrolled: 1-line block ×12, first 2 shown]
	s_waitcnt lgkmcnt(11)
	v_add_f64 v[54:55], v[86:87], v[98:99]
	v_add_f64 v[56:57], v[88:89], v[100:101]
	s_waitcnt lgkmcnt(10)
	v_add_f64 v[54:55], v[54:55], v[94:95]
	v_add_f64 v[56:57], v[56:57], v[96:97]
	;; [unrolled: 3-line block ×10, first 2 shown]
	s_waitcnt lgkmcnt(1)
	v_add_f64 v[54:55], v[54:55], v[102:103]
	s_waitcnt lgkmcnt(0)
	v_add_f64 v[112:113], v[100:101], v[108:109]
	v_add_f64 v[100:101], v[100:101], -v[108:109]
	v_add_f64 v[56:57], v[56:57], v[104:105]
	v_add_f64 v[54:55], v[54:55], v[106:107]
	;; [unrolled: 1-line block ×3, first 2 shown]
	v_add_f64 v[98:99], v[98:99], -v[106:107]
	v_mul_f64 v[106:107], v[100:101], s[16:17]
	v_mul_f64 v[118:119], v[100:101], s[26:27]
	;; [unrolled: 1-line block ×6, first 2 shown]
	v_add_f64 v[56:57], v[56:57], v[108:109]
	v_fma_f64 v[108:109], v[110:111], s[14:15], -v[106:107]
	v_mul_f64 v[114:115], v[98:99], s[16:17]
	v_fmac_f64_e32 v[106:107], s[14:15], v[110:111]
	v_fma_f64 v[120:121], v[110:111], s[12:13], -v[118:119]
	v_mul_f64 v[122:123], v[98:99], s[26:27]
	v_fmac_f64_e32 v[118:119], s[12:13], v[110:111]
	;; [unrolled: 3-line block ×6, first 2 shown]
	v_add_f64 v[108:109], v[86:87], v[108:109]
	v_fma_f64 v[116:117], s[14:15], v[112:113], v[114:115]
	v_add_f64 v[106:107], v[86:87], v[106:107]
	v_fma_f64 v[114:115], v[112:113], s[14:15], -v[114:115]
	v_add_f64 v[120:121], v[86:87], v[120:121]
	v_fma_f64 v[124:125], s[12:13], v[112:113], v[122:123]
	v_add_f64 v[118:119], v[86:87], v[118:119]
	v_fma_f64 v[122:123], v[112:113], s[12:13], -v[122:123]
	v_add_f64 v[128:129], v[86:87], v[128:129]
	v_fma_f64 v[132:133], s[0:1], v[112:113], v[130:131]
	v_add_f64 v[126:127], v[86:87], v[126:127]
	v_fma_f64 v[130:131], v[112:113], s[0:1], -v[130:131]
	v_add_f64 v[136:137], v[86:87], v[136:137]
	v_fma_f64 v[140:141], s[18:19], v[112:113], v[138:139]
	v_add_f64 v[134:135], v[86:87], v[134:135]
	v_fma_f64 v[138:139], v[112:113], s[18:19], -v[138:139]
	v_add_f64 v[144:145], v[86:87], v[144:145]
	v_fma_f64 v[148:149], s[22:23], v[112:113], v[146:147]
	v_add_f64 v[142:143], v[86:87], v[142:143]
	v_fma_f64 v[146:147], v[112:113], s[22:23], -v[146:147]
	v_add_f64 v[150:151], v[86:87], v[150:151]
	v_fma_f64 v[110:111], s[30:31], v[112:113], v[98:99]
	v_add_f64 v[86:87], v[86:87], v[100:101]
	v_fma_f64 v[98:99], v[112:113], s[30:31], -v[98:99]
	v_add_f64 v[100:101], v[96:97], v[104:105]
	v_add_f64 v[96:97], v[96:97], -v[104:105]
	v_add_f64 v[116:117], v[88:89], v[116:117]
	v_add_f64 v[114:115], v[88:89], v[114:115]
	;; [unrolled: 1-line block ×13, first 2 shown]
	v_add_f64 v[94:95], v[94:95], -v[102:103]
	v_mul_f64 v[102:103], v[96:97], s[26:27]
	v_fma_f64 v[104:105], v[98:99], s[12:13], -v[102:103]
	v_add_f64 v[104:105], v[104:105], v[108:109]
	v_mul_f64 v[108:109], v[94:95], s[26:27]
	v_fmac_f64_e32 v[102:103], s[12:13], v[98:99]
	v_fma_f64 v[112:113], s[12:13], v[100:101], v[108:109]
	v_add_f64 v[102:103], v[102:103], v[106:107]
	v_fma_f64 v[106:107], v[100:101], s[12:13], -v[108:109]
	v_mul_f64 v[108:109], v[96:97], s[20:21]
	v_add_f64 v[112:113], v[112:113], v[116:117]
	v_add_f64 v[106:107], v[106:107], v[114:115]
	v_fma_f64 v[114:115], v[98:99], s[18:19], -v[108:109]
	v_mul_f64 v[116:117], v[94:95], s[20:21]
	v_fmac_f64_e32 v[108:109], s[18:19], v[98:99]
	v_add_f64 v[114:115], v[114:115], v[120:121]
	v_fma_f64 v[120:121], s[18:19], v[100:101], v[116:117]
	v_add_f64 v[108:109], v[108:109], v[118:119]
	v_fma_f64 v[116:117], v[100:101], s[18:19], -v[116:117]
	v_mul_f64 v[118:119], v[96:97], s[34:35]
	v_add_f64 v[120:121], v[120:121], v[124:125]
	v_add_f64 v[116:117], v[116:117], v[122:123]
	v_fma_f64 v[122:123], v[98:99], s[30:31], -v[118:119]
	v_mul_f64 v[124:125], v[94:95], s[34:35]
	v_fmac_f64_e32 v[118:119], s[30:31], v[98:99]
	v_add_f64 v[122:123], v[122:123], v[128:129]
	;; [unrolled: 10-line block ×3, first 2 shown]
	v_fma_f64 v[136:137], s[22:23], v[100:101], v[132:133]
	v_add_f64 v[126:127], v[126:127], v[134:135]
	v_fma_f64 v[132:133], v[100:101], s[22:23], -v[132:133]
	v_mul_f64 v[134:135], v[96:97], s[28:29]
	s_mov_b32 s17, 0x3fddbe06
	v_add_f64 v[136:137], v[136:137], v[140:141]
	v_add_f64 v[132:133], v[132:133], v[138:139]
	v_fma_f64 v[138:139], v[98:99], s[0:1], -v[134:135]
	v_mul_f64 v[140:141], v[94:95], s[28:29]
	v_fmac_f64_e32 v[134:135], s[0:1], v[98:99]
	v_mul_f64 v[96:97], v[96:97], s[16:17]
	v_add_f64 v[138:139], v[138:139], v[144:145]
	v_fma_f64 v[144:145], s[0:1], v[100:101], v[140:141]
	v_add_f64 v[134:135], v[134:135], v[142:143]
	v_fma_f64 v[140:141], v[100:101], s[0:1], -v[140:141]
	v_fma_f64 v[142:143], v[98:99], s[14:15], -v[96:97]
	v_mul_f64 v[94:95], v[94:95], s[16:17]
	v_fmac_f64_e32 v[96:97], s[14:15], v[98:99]
	v_add_f64 v[140:141], v[140:141], v[146:147]
	v_fma_f64 v[146:147], s[14:15], v[100:101], v[94:95]
	v_add_f64 v[86:87], v[96:97], v[86:87]
	v_fma_f64 v[94:95], v[100:101], s[14:15], -v[94:95]
	v_add_f64 v[96:97], v[84:85], v[92:93]
	v_add_f64 v[84:85], v[84:85], -v[92:93]
	v_add_f64 v[88:89], v[94:95], v[88:89]
	v_add_f64 v[94:95], v[82:83], v[90:91]
	v_add_f64 v[82:83], v[82:83], -v[90:91]
	v_mul_f64 v[90:91], v[84:85], s[36:37]
	v_fma_f64 v[92:93], v[94:95], s[0:1], -v[90:91]
	v_mul_f64 v[98:99], v[82:83], s[36:37]
	v_fmac_f64_e32 v[90:91], s[0:1], v[94:95]
	v_fma_f64 v[100:101], s[0:1], v[96:97], v[98:99]
	v_add_f64 v[90:91], v[90:91], v[102:103]
	v_fma_f64 v[98:99], v[96:97], s[0:1], -v[98:99]
	v_mul_f64 v[102:103], v[84:85], s[34:35]
	v_add_f64 v[92:93], v[92:93], v[104:105]
	v_add_f64 v[98:99], v[98:99], v[106:107]
	v_fma_f64 v[104:105], v[94:95], s[30:31], -v[102:103]
	v_mul_f64 v[106:107], v[82:83], s[34:35]
	v_fmac_f64_e32 v[102:103], s[30:31], v[94:95]
	s_mov_b32 s40, s20
	v_add_f64 v[100:101], v[100:101], v[112:113]
	v_fma_f64 v[112:113], s[30:31], v[96:97], v[106:107]
	v_add_f64 v[102:103], v[102:103], v[108:109]
	v_fma_f64 v[106:107], v[96:97], s[30:31], -v[106:107]
	v_mul_f64 v[108:109], v[84:85], s[40:41]
	v_add_f64 v[104:105], v[104:105], v[114:115]
	v_add_f64 v[106:107], v[106:107], v[116:117]
	v_fma_f64 v[114:115], v[94:95], s[18:19], -v[108:109]
	v_mul_f64 v[116:117], v[82:83], s[40:41]
	v_fmac_f64_e32 v[108:109], s[18:19], v[94:95]
	v_add_f64 v[112:113], v[112:113], v[120:121]
	v_fma_f64 v[120:121], s[18:19], v[96:97], v[116:117]
	v_add_f64 v[108:109], v[108:109], v[118:119]
	v_fma_f64 v[116:117], v[96:97], s[18:19], -v[116:117]
	v_mul_f64 v[118:119], v[84:85], s[16:17]
	v_add_f64 v[114:115], v[114:115], v[122:123]
	v_add_f64 v[116:117], v[116:117], v[124:125]
	v_fma_f64 v[122:123], v[94:95], s[14:15], -v[118:119]
	v_mul_f64 v[124:125], v[82:83], s[16:17]
	v_fmac_f64_e32 v[118:119], s[14:15], v[94:95]
	v_add_f64 v[120:121], v[120:121], v[128:129]
	v_fma_f64 v[128:129], s[14:15], v[96:97], v[124:125]
	v_add_f64 v[118:119], v[118:119], v[126:127]
	v_fma_f64 v[124:125], v[96:97], s[14:15], -v[124:125]
	v_mul_f64 v[126:127], v[84:85], s[26:27]
	v_add_f64 v[122:123], v[122:123], v[130:131]
	v_add_f64 v[124:125], v[124:125], v[132:133]
	v_fma_f64 v[130:131], v[94:95], s[12:13], -v[126:127]
	v_mul_f64 v[132:133], v[82:83], s[26:27]
	v_mul_f64 v[82:83], v[82:83], s[24:25]
	v_add_f64 v[130:131], v[130:131], v[138:139]
	v_fmac_f64_e32 v[126:127], s[12:13], v[94:95]
	v_mul_f64 v[84:85], v[84:85], s[24:25]
	v_fma_f64 v[138:139], s[22:23], v[96:97], v[82:83]
	v_fma_f64 v[82:83], v[96:97], s[22:23], -v[82:83]
	v_add_f64 v[126:127], v[126:127], v[134:135]
	v_fma_f64 v[134:135], v[94:95], s[22:23], -v[84:85]
	v_fmac_f64_e32 v[84:85], s[22:23], v[94:95]
	v_add_f64 v[82:83], v[82:83], v[88:89]
	v_add_f64 v[88:89], v[76:77], v[80:81]
	v_add_f64 v[76:77], v[76:77], -v[80:81]
	v_add_f64 v[84:85], v[84:85], v[86:87]
	v_add_f64 v[86:87], v[74:75], v[78:79]
	v_add_f64 v[74:75], v[74:75], -v[78:79]
	v_mul_f64 v[78:79], v[76:77], s[20:21]
	v_fma_f64 v[80:81], v[86:87], s[18:19], -v[78:79]
	v_add_f64 v[80:81], v[80:81], v[92:93]
	v_mul_f64 v[92:93], v[74:75], s[20:21]
	v_fmac_f64_e32 v[78:79], s[18:19], v[86:87]
	v_fma_f64 v[94:95], s[18:19], v[88:89], v[92:93]
	v_add_f64 v[78:79], v[78:79], v[90:91]
	v_fma_f64 v[90:91], v[88:89], s[18:19], -v[92:93]
	v_mul_f64 v[92:93], v[76:77], s[38:39]
	v_add_f64 v[128:129], v[128:129], v[136:137]
	v_fma_f64 v[136:137], s[12:13], v[96:97], v[132:133]
	v_fma_f64 v[132:133], v[96:97], s[12:13], -v[132:133]
	v_fma_f64 v[96:97], v[86:87], s[22:23], -v[92:93]
	v_fmac_f64_e32 v[92:93], s[22:23], v[86:87]
	v_add_f64 v[90:91], v[90:91], v[98:99]
	v_mul_f64 v[98:99], v[74:75], s[38:39]
	v_add_f64 v[92:93], v[92:93], v[102:103]
	v_mul_f64 v[102:103], v[76:77], s[16:17]
	v_add_f64 v[94:95], v[94:95], v[100:101]
	v_add_f64 v[96:97], v[96:97], v[104:105]
	v_fma_f64 v[100:101], s[22:23], v[88:89], v[98:99]
	v_fma_f64 v[98:99], v[88:89], s[22:23], -v[98:99]
	v_fma_f64 v[104:105], v[86:87], s[14:15], -v[102:103]
	v_fmac_f64_e32 v[102:103], s[14:15], v[86:87]
	v_add_f64 v[98:99], v[98:99], v[106:107]
	v_mul_f64 v[106:107], v[74:75], s[16:17]
	v_add_f64 v[102:103], v[102:103], v[108:109]
	v_mul_f64 v[108:109], v[76:77], s[36:37]
	v_add_f64 v[100:101], v[100:101], v[112:113]
	v_add_f64 v[104:105], v[104:105], v[114:115]
	v_fma_f64 v[112:113], s[14:15], v[88:89], v[106:107]
	v_fma_f64 v[106:107], v[88:89], s[14:15], -v[106:107]
	v_fma_f64 v[114:115], v[86:87], s[0:1], -v[108:109]
	v_fmac_f64_e32 v[108:109], s[0:1], v[86:87]
	s_mov_b32 s39, 0x3fcea1e5
	s_mov_b32 s38, s34
	v_add_f64 v[106:107], v[106:107], v[116:117]
	v_mul_f64 v[116:117], v[74:75], s[36:37]
	v_add_f64 v[108:109], v[108:109], v[118:119]
	v_mul_f64 v[118:119], v[76:77], s[38:39]
	s_mov_b32 s37, 0x3fea55e2
	s_mov_b32 s36, s26
	v_add_f64 v[112:113], v[112:113], v[120:121]
	v_add_f64 v[114:115], v[114:115], v[122:123]
	v_fma_f64 v[120:121], s[0:1], v[88:89], v[116:117]
	v_fma_f64 v[116:117], v[88:89], s[0:1], -v[116:117]
	v_fma_f64 v[122:123], v[86:87], s[30:31], -v[118:119]
	v_fmac_f64_e32 v[118:119], s[30:31], v[86:87]
	v_mul_f64 v[76:77], v[76:77], s[36:37]
	v_add_f64 v[116:117], v[116:117], v[124:125]
	v_mul_f64 v[124:125], v[74:75], s[38:39]
	v_add_f64 v[118:119], v[118:119], v[126:127]
	v_fma_f64 v[126:127], v[86:87], s[12:13], -v[76:77]
	v_mul_f64 v[74:75], v[74:75], s[36:37]
	v_fmac_f64_e32 v[76:77], s[12:13], v[86:87]
	v_add_f64 v[122:123], v[122:123], v[130:131]
	v_fma_f64 v[130:131], s[12:13], v[88:89], v[74:75]
	v_add_f64 v[76:77], v[76:77], v[84:85]
	v_fma_f64 v[74:75], v[88:89], s[12:13], -v[74:75]
	v_add_f64 v[84:85], v[68:69], v[72:73]
	v_add_f64 v[68:69], v[68:69], -v[72:73]
	v_add_f64 v[74:75], v[74:75], v[82:83]
	v_add_f64 v[82:83], v[66:67], v[70:71]
	v_add_f64 v[66:67], v[66:67], -v[70:71]
	v_mul_f64 v[70:71], v[68:69], s[24:25]
	v_fma_f64 v[72:73], v[82:83], s[22:23], -v[70:71]
	v_add_f64 v[72:73], v[72:73], v[80:81]
	v_mul_f64 v[80:81], v[66:67], s[24:25]
	v_fmac_f64_e32 v[70:71], s[22:23], v[82:83]
	v_fma_f64 v[86:87], s[22:23], v[84:85], v[80:81]
	v_add_f64 v[70:71], v[70:71], v[78:79]
	v_fma_f64 v[78:79], v[84:85], s[22:23], -v[80:81]
	v_mul_f64 v[80:81], v[68:69], s[28:29]
	v_add_f64 v[120:121], v[120:121], v[128:129]
	v_fma_f64 v[128:129], s[30:31], v[88:89], v[124:125]
	v_fma_f64 v[124:125], v[88:89], s[30:31], -v[124:125]
	v_fma_f64 v[88:89], v[82:83], s[0:1], -v[80:81]
	v_fmac_f64_e32 v[80:81], s[0:1], v[82:83]
	v_add_f64 v[78:79], v[78:79], v[90:91]
	v_mul_f64 v[90:91], v[66:67], s[28:29]
	v_add_f64 v[80:81], v[80:81], v[92:93]
	v_mul_f64 v[92:93], v[68:69], s[26:27]
	v_add_f64 v[86:87], v[86:87], v[94:95]
	v_add_f64 v[88:89], v[88:89], v[96:97]
	v_fma_f64 v[94:95], s[0:1], v[84:85], v[90:91]
	v_fma_f64 v[90:91], v[84:85], s[0:1], -v[90:91]
	v_fma_f64 v[96:97], v[82:83], s[12:13], -v[92:93]
	v_fmac_f64_e32 v[92:93], s[12:13], v[82:83]
	v_add_f64 v[90:91], v[90:91], v[98:99]
	v_mul_f64 v[98:99], v[66:67], s[26:27]
	v_add_f64 v[92:93], v[92:93], v[102:103]
	v_mul_f64 v[102:103], v[68:69], s[38:39]
	v_add_f64 v[94:95], v[94:95], v[100:101]
	v_add_f64 v[96:97], v[96:97], v[104:105]
	v_fma_f64 v[100:101], s[12:13], v[84:85], v[98:99]
	v_fma_f64 v[98:99], v[84:85], s[12:13], -v[98:99]
	v_fma_f64 v[104:105], v[82:83], s[30:31], -v[102:103]
	v_fmac_f64_e32 v[102:103], s[30:31], v[82:83]
	v_add_f64 v[142:143], v[142:143], v[150:151]
	v_add_f64 v[98:99], v[98:99], v[106:107]
	v_mul_f64 v[106:107], v[66:67], s[38:39]
	v_add_f64 v[102:103], v[102:103], v[108:109]
	v_mul_f64 v[108:109], v[68:69], s[16:17]
	v_add_f64 v[144:145], v[144:145], v[148:149]
	v_add_f64 v[110:111], v[146:147], v[110:111]
	;; [unrolled: 1-line block ×6, first 2 shown]
	v_fma_f64 v[112:113], s[30:31], v[84:85], v[106:107]
	v_fma_f64 v[106:107], v[84:85], s[30:31], -v[106:107]
	v_fma_f64 v[114:115], v[82:83], s[14:15], -v[108:109]
	v_fmac_f64_e32 v[108:109], s[14:15], v[82:83]
	v_mul_f64 v[68:69], v[68:69], s[20:21]
	v_add_f64 v[136:137], v[136:137], v[144:145]
	v_add_f64 v[110:111], v[138:139], v[110:111]
	;; [unrolled: 1-line block ×5, first 2 shown]
	v_mul_f64 v[116:117], v[66:67], s[16:17]
	v_add_f64 v[108:109], v[108:109], v[118:119]
	v_fma_f64 v[118:119], v[82:83], s[18:19], -v[68:69]
	v_add_f64 v[132:133], v[60:61], -v[64:65]
	v_add_f64 v[128:129], v[128:129], v[136:137]
	v_add_f64 v[110:111], v[130:131], v[110:111]
	;; [unrolled: 1-line block ×3, first 2 shown]
	v_fma_f64 v[120:121], s[14:15], v[84:85], v[116:117]
	v_add_f64 v[118:119], v[118:119], v[126:127]
	v_mul_f64 v[66:67], v[66:67], s[20:21]
	v_add_f64 v[126:127], v[58:59], v[62:63]
	v_add_f64 v[130:131], v[58:59], -v[62:63]
	v_mul_f64 v[62:63], v[132:133], s[34:35]
	v_add_f64 v[114:115], v[114:115], v[122:123]
	v_add_f64 v[120:121], v[120:121], v[128:129]
	v_fma_f64 v[116:117], v[84:85], s[14:15], -v[116:117]
	v_fma_f64 v[122:123], s[18:19], v[84:85], v[66:67]
	v_fma_f64 v[66:67], v[84:85], s[18:19], -v[66:67]
	v_add_f64 v[128:129], v[60:61], v[64:65]
	v_fma_f64 v[58:59], v[126:127], s[30:31], -v[62:63]
	v_mul_f64 v[64:65], v[130:131], s[34:35]
	v_fmac_f64_e32 v[62:63], s[30:31], v[126:127]
	v_add_f64 v[116:117], v[116:117], v[124:125]
	v_fmac_f64_e32 v[68:69], s[18:19], v[82:83]
	v_add_f64 v[124:125], v[66:67], v[74:75]
	v_fma_f64 v[60:61], s[30:31], v[128:129], v[64:65]
	v_add_f64 v[74:75], v[62:63], v[70:71]
	v_fma_f64 v[62:63], v[128:129], s[30:31], -v[64:65]
	v_mul_f64 v[66:67], v[132:133], s[16:17]
	v_add_f64 v[110:111], v[122:123], v[110:111]
	v_add_f64 v[122:123], v[68:69], v[76:77]
	;; [unrolled: 1-line block ×4, first 2 shown]
	v_fma_f64 v[62:63], v[126:127], s[14:15], -v[66:67]
	v_mul_f64 v[68:69], v[130:131], s[16:17]
	v_fmac_f64_e32 v[66:67], s[14:15], v[126:127]
	v_mul_f64 v[78:79], v[132:133], s[24:25]
	v_mul_f64 v[86:87], v[132:133], s[36:37]
	v_fma_f64 v[64:65], s[14:15], v[128:129], v[68:69]
	v_add_f64 v[66:67], v[66:67], v[80:81]
	v_fma_f64 v[70:71], v[126:127], s[22:23], -v[78:79]
	v_mul_f64 v[80:81], v[130:131], s[24:25]
	v_fma_f64 v[82:83], v[126:127], s[12:13], -v[86:87]
	v_fmac_f64_e32 v[86:87], s[12:13], v[126:127]
	v_add_f64 v[58:59], v[58:59], v[72:73]
	v_add_f64 v[62:63], v[62:63], v[88:89]
	;; [unrolled: 1-line block ×3, first 2 shown]
	v_fma_f64 v[68:69], v[128:129], s[14:15], -v[68:69]
	v_add_f64 v[70:71], v[70:71], v[96:97]
	v_fma_f64 v[72:73], s[22:23], v[128:129], v[80:81]
	v_fmac_f64_e32 v[78:79], s[22:23], v[126:127]
	v_fma_f64 v[80:81], v[128:129], s[22:23], -v[80:81]
	v_add_f64 v[82:83], v[82:83], v[104:105]
	v_mul_f64 v[88:89], v[130:131], s[36:37]
	v_add_f64 v[86:87], v[86:87], v[102:103]
	v_mul_f64 v[94:95], v[132:133], s[20:21]
	v_mul_f64 v[96:97], v[130:131], s[20:21]
	v_mul_f64 v[102:103], v[132:133], s[28:29]
	v_mul_f64 v[104:105], v[130:131], s[28:29]
	v_add_f64 v[68:69], v[68:69], v[90:91]
	v_add_f64 v[72:73], v[72:73], v[100:101]
	;; [unrolled: 1-line block ×4, first 2 shown]
	v_fma_f64 v[84:85], s[12:13], v[128:129], v[88:89]
	v_fma_f64 v[88:89], v[128:129], s[12:13], -v[88:89]
	v_fma_f64 v[90:91], v[126:127], s[18:19], -v[94:95]
	v_fma_f64 v[92:93], s[18:19], v[128:129], v[96:97]
	v_fmac_f64_e32 v[94:95], s[18:19], v[126:127]
	v_fma_f64 v[96:97], v[128:129], s[18:19], -v[96:97]
	v_fma_f64 v[98:99], v[126:127], s[0:1], -v[102:103]
	v_fma_f64 v[100:101], s[0:1], v[128:129], v[104:105]
	v_fmac_f64_e32 v[102:103], s[0:1], v[126:127]
	v_fma_f64 v[104:105], v[128:129], s[0:1], -v[104:105]
	v_mul_u32_u24_e32 v0, 13, v207
	v_add_f64 v[88:89], v[88:89], v[106:107]
	v_add_f64 v[90:91], v[90:91], v[114:115]
	;; [unrolled: 1-line block ×9, first 2 shown]
	v_add_lshl_u32 v228, v243, v0, 4
	v_add_f64 v[84:85], v[84:85], v[112:113]
	s_waitcnt lgkmcnt(0)
	; wave barrier
	ds_write_b128 v228, v[54:57]
	ds_write_b128 v228, v[58:61] offset:16
	ds_write_b128 v228, v[62:65] offset:32
	;; [unrolled: 1-line block ×12, first 2 shown]
	s_waitcnt lgkmcnt(0)
	; wave barrier
	s_waitcnt lgkmcnt(0)
	ds_read_b128 v[106:109], v227
	ds_read_b128 v[102:105], v226 offset:512
	ds_read_b128 v[58:61], v226 offset:3328
	;; [unrolled: 1-line block ×11, first 2 shown]
	v_or_b32_e32 v0, 0xc0, v207
	s_mov_b64 s[0:1], 0xd0
	v_cmp_gt_u64_e32 vcc, s[0:1], v[0:1]
                                        ; implicit-def: $vgpr82_vgpr83
	s_and_saveexec_b64 s[0:1], vcc
	s_cbranch_execz .LBB0_3
; %bb.2:
	ds_read_b128 v[74:77], v226 offset:3072
	ds_read_b128 v[82:85], v226 offset:6400
.LBB0_3:
	s_or_b64 exec, exec, s[0:1]
	v_mul_lo_u16_e32 v1, 20, v207
	v_lshrrev_b16_e32 v2, 8, v1
	v_mul_lo_u16_e32 v1, 13, v2
	v_sub_u16_e32 v3, v207, v1
	v_mov_b32_e32 v1, 4
	v_lshlrev_b32_sdwa v4, v1, v3 dst_sel:DWORD dst_unused:UNUSED_PAD src0_sel:DWORD src1_sel:BYTE_0
	global_load_dwordx4 v[54:57], v4, s[10:11]
	v_or_b32_e32 v4, 32, v207
	v_mul_lo_u16_e32 v5, 20, v4
	v_lshrrev_b16_e32 v5, 8, v5
	s_waitcnt vmcnt(0) lgkmcnt(9)
	v_mul_f64 v[110:111], v[60:61], v[56:57]
	v_fma_f64 v[110:111], v[58:59], v[54:55], -v[110:111]
	v_mul_f64 v[112:113], v[58:59], v[56:57]
	v_mul_lo_u16_e32 v58, 13, v5
	v_sub_u16_e32 v4, v4, v58
	v_lshlrev_b32_sdwa v58, v1, v4 dst_sel:DWORD dst_unused:UNUSED_PAD src0_sel:DWORD src1_sel:BYTE_0
	v_fmac_f64_e32 v[112:113], v[60:61], v[54:55]
	global_load_dwordx4 v[58:61], v58, s[10:11]
	s_waitcnt vmcnt(0) lgkmcnt(8)
	v_mul_f64 v[118:119], v[64:65], v[60:61]
	v_fma_f64 v[118:119], v[62:63], v[58:59], -v[118:119]
	v_mul_f64 v[120:121], v[62:63], v[60:61]
	v_or_b32_e32 v62, 64, v207
	v_mul_lo_u16_e32 v63, 0x4f, v62
	v_lshrrev_b16_e32 v150, 10, v63
	v_mul_lo_u16_e32 v63, 13, v150
	v_sub_u16_e32 v151, v62, v63
	v_lshlrev_b32_sdwa v62, v1, v151 dst_sel:DWORD dst_unused:UNUSED_PAD src0_sel:DWORD src1_sel:BYTE_0
	v_fmac_f64_e32 v[120:121], v[64:65], v[58:59]
	global_load_dwordx4 v[62:65], v62, s[10:11]
	s_waitcnt vmcnt(0) lgkmcnt(5)
	v_mul_f64 v[122:123], v[68:69], v[64:65]
	v_fma_f64 v[122:123], v[66:67], v[62:63], -v[122:123]
	v_mul_f64 v[124:125], v[66:67], v[64:65]
	v_or_b32_e32 v66, 0x60, v207
	v_mul_lo_u16_e32 v67, 0x4f, v66
	v_lshrrev_b16_e32 v152, 10, v67
	;; [unrolled: 12-line block ×4, first 2 shown]
	v_mul_lo_u16_e32 v79, 13, v156
	v_sub_u16_e32 v157, v78, v79
	v_lshlrev_b32_sdwa v78, v1, v157 dst_sel:DWORD dst_unused:UNUSED_PAD src0_sel:DWORD src1_sel:BYTE_0
	v_fmac_f64_e32 v[132:133], v[80:81], v[70:71]
	global_load_dwordx4 v[78:81], v78, s[10:11]
	v_add_f64 v[130:131], v[94:95], -v[130:131]
	v_add_f64 v[132:133], v[96:97], -v[132:133]
	s_waitcnt vmcnt(0) lgkmcnt(0)
	v_mul_f64 v[134:135], v[92:93], v[80:81]
	v_fma_f64 v[134:135], v[90:91], v[78:79], -v[134:135]
	v_mul_f64 v[136:137], v[90:91], v[80:81]
	v_mul_lo_u16_e32 v90, 0x4f, v0
	v_lshrrev_b16_e32 v162, 10, v90
	v_mul_lo_u16_e32 v90, 13, v162
	v_sub_u16_e32 v0, v0, v90
	v_accvgpr_write_b32 a4, v0
	v_lshlrev_b32_sdwa v0, v1, v0 dst_sel:DWORD dst_unused:UNUSED_PAD src0_sel:DWORD src1_sel:BYTE_0
	v_fmac_f64_e32 v[136:137], v[92:93], v[78:79]
	global_load_dwordx4 v[90:93], v0, s[10:11]
	s_waitcnt lgkmcnt(0)
	; wave barrier
	v_add_f64 v[138:139], v[86:87], -v[134:135]
	v_add_f64 v[140:141], v[88:89], -v[136:137]
	v_fma_f64 v[134:135], v[86:87], 2.0, -v[138:139]
	v_fma_f64 v[136:137], v[88:89], 2.0, -v[140:141]
	s_waitcnt vmcnt(0)
	v_mul_f64 v[0:1], v[84:85], v[92:93]
	v_fma_f64 v[0:1], v[82:83], v[90:91], -v[0:1]
	v_mul_f64 v[148:149], v[82:83], v[92:93]
	v_add_f64 v[146:147], v[74:75], -v[0:1]
	v_mad_legacy_u16 v0, v2, 26, v3
	v_fmac_f64_e32 v[148:149], v[84:85], v[90:91]
	v_add_f64 v[82:83], v[106:107], -v[110:111]
	v_add_f64 v[84:85], v[108:109], -v[112:113]
	v_and_b32_e32 v0, 0xff, v0
	v_fma_f64 v[142:143], v[106:107], 2.0, -v[82:83]
	v_fma_f64 v[144:145], v[108:109], 2.0, -v[84:85]
	v_add_lshl_u32 v0, v243, v0, 4
	ds_write_b128 v0, v[142:145]
	v_accvgpr_write_b32 a5, v0
	ds_write_b128 v0, v[82:85] offset:208
	v_mad_legacy_u16 v0, v5, 26, v4
	v_add_f64 v[106:107], v[102:103], -v[118:119]
	v_add_f64 v[108:109], v[104:105], -v[120:121]
	v_and_b32_e32 v0, 0xff, v0
	v_fma_f64 v[102:103], v[102:103], 2.0, -v[106:107]
	v_fma_f64 v[104:105], v[104:105], 2.0, -v[108:109]
	v_add_lshl_u32 v0, v243, v0, 4
	ds_write_b128 v0, v[102:105]
	v_accvgpr_write_b32 a6, v0
	ds_write_b128 v0, v[106:109] offset:208
	v_mul_lo_u16_e32 v0, 26, v150
	v_add_f64 v[110:111], v[114:115], -v[122:123]
	v_add_f64 v[112:113], v[116:117], -v[124:125]
	v_add_u32_sdwa v0, v0, v151 dst_sel:DWORD dst_unused:UNUSED_PAD src0_sel:DWORD src1_sel:BYTE_0
	v_fma_f64 v[114:115], v[114:115], 2.0, -v[110:111]
	v_fma_f64 v[116:117], v[116:117], 2.0, -v[112:113]
	v_add_lshl_u32 v0, v243, v0, 4
	ds_write_b128 v0, v[114:117]
	v_accvgpr_write_b32 a7, v0
	ds_write_b128 v0, v[110:113] offset:208
	v_mul_u32_u24_e32 v0, 26, v152
	v_add_f64 v[118:119], v[98:99], -v[126:127]
	v_add_f64 v[120:121], v[100:101], -v[128:129]
	v_add_u32_sdwa v0, v0, v153 dst_sel:DWORD dst_unused:UNUSED_PAD src0_sel:DWORD src1_sel:BYTE_0
	v_fma_f64 v[122:123], v[98:99], 2.0, -v[118:119]
	v_fma_f64 v[124:125], v[100:101], 2.0, -v[120:121]
	v_add_lshl_u32 v0, v243, v0, 4
	ds_write_b128 v0, v[122:125]
	v_accvgpr_write_b32 a8, v0
	ds_write_b128 v0, v[118:121] offset:208
	v_mul_u32_u24_e32 v0, 26, v154
	v_add_u32_sdwa v0, v0, v155 dst_sel:DWORD dst_unused:UNUSED_PAD src0_sel:DWORD src1_sel:BYTE_0
	v_fma_f64 v[126:127], v[94:95], 2.0, -v[130:131]
	v_fma_f64 v[128:129], v[96:97], 2.0, -v[132:133]
	v_add_lshl_u32 v0, v243, v0, 4
	ds_write_b128 v0, v[126:129]
	v_accvgpr_write_b32 a9, v0
	ds_write_b128 v0, v[130:133] offset:208
	v_mul_u32_u24_e32 v0, 26, v156
	v_add_u32_sdwa v0, v0, v157 dst_sel:DWORD dst_unused:UNUSED_PAD src0_sel:DWORD src1_sel:BYTE_0
	v_add_lshl_u32 v0, v243, v0, 4
	v_add_f64 v[148:149], v[76:77], -v[148:149]
	ds_write_b128 v0, v[134:137]
	v_accvgpr_write_b32 a10, v0
	ds_write_b128 v0, v[138:141] offset:208
	v_mul_u32_u24_e32 v0, 26, v162
	v_fma_f64 v[158:159], v[74:75], 2.0, -v[146:147]
	v_fma_f64 v[160:161], v[76:77], 2.0, -v[148:149]
	v_accvgpr_write_b32 a11, v0
	s_and_saveexec_b64 s[0:1], vcc
	s_cbranch_execz .LBB0_5
; %bb.4:
	v_accvgpr_read_b32 v0, a4
	v_accvgpr_read_b32 v1, a11
	v_add_u32_sdwa v0, v1, v0 dst_sel:DWORD dst_unused:UNUSED_PAD src0_sel:DWORD src1_sel:BYTE_0
	v_add_lshl_u32 v0, v243, v0, 4
	ds_write_b128 v0, v[158:161]
	ds_write_b128 v0, v[146:149] offset:208
.LBB0_5:
	s_or_b64 exec, exec, s[0:1]
	v_cmp_gt_u32_e64 s[0:1], 26, v207
	s_waitcnt lgkmcnt(0)
	; wave barrier
	s_waitcnt lgkmcnt(0)
                                        ; implicit-def: $vgpr150_vgpr151
                                        ; implicit-def: $vgpr154_vgpr155
	s_and_saveexec_b64 s[12:13], s[0:1]
	s_cbranch_execz .LBB0_7
; %bb.6:
	ds_read_b128 v[142:145], v227
	ds_read_b128 v[82:85], v226 offset:416
	ds_read_b128 v[102:105], v226 offset:832
	;; [unrolled: 1-line block ×15, first 2 shown]
.LBB0_7:
	s_or_b64 exec, exec, s[12:13]
	v_subrev_u32_e32 v0, 26, v207
	v_cndmask_b32_e64 v0, v0, v207, s[0:1]
	v_mul_hi_i32_i24_e32 v1, 0xf0, v0
	v_mul_i32_i24_e32 v0, 0xf0, v0
	v_lshl_add_u64 v[192:193], s[10:11], 0, v[0:1]
	global_load_dwordx4 v[74:77], v[192:193], off offset:256
	global_load_dwordx4 v[86:89], v[192:193], off offset:240
	;; [unrolled: 1-line block ×4, first 2 shown]
	s_mov_b32 s12, 0x667f3bcd
	s_mov_b32 s13, 0xbfe6a09e
	;; [unrolled: 1-line block ×12, first 2 shown]
	s_waitcnt vmcnt(3) lgkmcnt(11)
	v_mul_f64 v[174:175], v[114:115], v[76:77]
	s_waitcnt vmcnt(2)
	v_mul_f64 v[166:167], v[106:107], v[88:89]
	s_waitcnt vmcnt(1)
	;; [unrolled: 2-line block ×3, first 2 shown]
	v_mul_f64 v[0:1], v[84:85], v[96:97]
	v_fma_f64 v[0:1], v[82:83], v[94:95], -v[0:1]
	v_mul_f64 v[162:163], v[82:83], v[96:97]
	v_mul_f64 v[82:83], v[104:105], v[100:101]
	v_fma_f64 v[168:169], v[102:103], v[98:99], -v[82:83]
	v_mul_f64 v[82:83], v[108:109], v[88:89]
	v_fma_f64 v[164:165], v[106:107], v[86:87], -v[82:83]
	v_mul_f64 v[82:83], v[116:117], v[76:77]
	v_fmac_f64_e32 v[162:163], v[84:85], v[94:95]
	v_fmac_f64_e32 v[170:171], v[104:105], v[98:99]
	;; [unrolled: 1-line block ×3, first 2 shown]
	v_fma_f64 v[172:173], v[114:115], v[74:75], -v[82:83]
	v_fmac_f64_e32 v[174:175], v[116:117], v[74:75]
	global_load_dwordx4 v[82:85], v[192:193], off offset:320
	global_load_dwordx4 v[102:105], v[192:193], off offset:304
	;; [unrolled: 1-line block ×4, first 2 shown]
	s_waitcnt vmcnt(3) lgkmcnt(7)
	v_mul_f64 v[190:191], v[126:127], v[84:85]
	s_waitcnt vmcnt(2)
	v_mul_f64 v[182:183], v[118:119], v[104:105]
	s_waitcnt vmcnt(1)
	;; [unrolled: 2-line block ×3, first 2 shown]
	v_mul_f64 v[176:177], v[112:113], v[116:117]
	v_fma_f64 v[176:177], v[110:111], v[114:115], -v[176:177]
	v_mul_f64 v[178:179], v[110:111], v[116:117]
	v_mul_f64 v[110:111], v[124:125], v[108:109]
	v_fma_f64 v[184:185], v[122:123], v[106:107], -v[110:111]
	v_mul_f64 v[110:111], v[120:121], v[104:105]
	v_fma_f64 v[180:181], v[118:119], v[102:103], -v[110:111]
	v_mul_f64 v[110:111], v[128:129], v[84:85]
	v_fmac_f64_e32 v[178:179], v[112:113], v[114:115]
	v_fmac_f64_e32 v[186:187], v[124:125], v[106:107]
	;; [unrolled: 1-line block ×3, first 2 shown]
	v_fma_f64 v[188:189], v[126:127], v[82:83], -v[110:111]
	v_fmac_f64_e32 v[190:191], v[128:129], v[82:83]
	global_load_dwordx4 v[110:113], v[192:193], off offset:384
	global_load_dwordx4 v[118:121], v[192:193], off offset:368
	;; [unrolled: 1-line block ×4, first 2 shown]
	v_add_f64 v[212:213], v[144:145], -v[190:191]
	s_waitcnt vmcnt(2) lgkmcnt(4)
	v_mul_f64 v[200:201], v[138:139], v[120:121]
	s_waitcnt vmcnt(1)
	v_mul_f64 v[204:205], v[134:135], v[124:125]
	s_waitcnt vmcnt(0)
	v_mul_f64 v[194:195], v[132:133], v[128:129]
	v_fma_f64 v[194:195], v[130:131], v[126:127], -v[194:195]
	v_mul_f64 v[196:197], v[130:131], v[128:129]
	v_mul_f64 v[130:131], v[136:137], v[124:125]
	v_fma_f64 v[202:203], v[134:135], v[122:123], -v[130:131]
	v_mul_f64 v[130:131], v[140:141], v[120:121]
	v_fma_f64 v[198:199], v[138:139], v[118:119], -v[130:131]
	s_waitcnt lgkmcnt(3)
	v_mul_f64 v[130:131], v[160:161], v[112:113]
	v_fmac_f64_e32 v[196:197], v[132:133], v[126:127]
	v_fmac_f64_e32 v[204:205], v[136:137], v[122:123]
	v_fmac_f64_e32 v[200:201], v[140:141], v[118:119]
	v_fma_f64 v[208:209], v[158:159], v[110:111], -v[130:131]
	global_load_dwordx4 v[130:133], v[192:193], off offset:432
	global_load_dwordx4 v[134:137], v[192:193], off offset:416
	;; [unrolled: 1-line block ×3, first 2 shown]
	v_mul_f64 v[158:159], v[158:159], v[112:113]
	v_fmac_f64_e32 v[158:159], v[160:161], v[110:111]
	v_add_f64 v[216:217], v[162:163], -v[196:197]
	v_add_f64 v[204:205], v[170:171], -v[204:205]
	;; [unrolled: 1-line block ×3, first 2 shown]
	v_fma_f64 v[190:191], v[170:171], 2.0, -v[204:205]
	v_fma_f64 v[192:193], v[0:1], 2.0, -v[194:195]
	v_add_f64 v[220:221], v[166:167], -v[200:201]
	s_waitcnt vmcnt(0) lgkmcnt(2)
	v_mul_f64 v[160:161], v[148:149], v[140:141]
	v_fma_f64 v[210:211], v[146:147], v[138:139], -v[160:161]
	v_mul_f64 v[146:147], v[146:147], v[140:141]
	v_fmac_f64_e32 v[146:147], v[148:149], v[138:139]
	s_waitcnt lgkmcnt(1)
	v_mul_f64 v[148:149], v[156:157], v[136:137]
	v_fma_f64 v[148:149], v[154:155], v[134:135], -v[148:149]
	v_mul_f64 v[154:155], v[154:155], v[136:137]
	v_fmac_f64_e32 v[154:155], v[156:157], v[134:135]
	s_waitcnt lgkmcnt(0)
	v_mul_f64 v[156:157], v[152:153], v[132:133]
	v_fma_f64 v[156:157], v[150:151], v[130:131], -v[156:157]
	v_mul_f64 v[150:151], v[150:151], v[132:133]
	v_fmac_f64_e32 v[150:151], v[152:153], v[130:131]
	v_add_f64 v[152:153], v[142:143], -v[188:189]
	v_add_f64 v[148:149], v[184:185], -v[148:149]
	v_fma_f64 v[160:161], v[142:143], 2.0, -v[152:153]
	v_add_f64 v[142:143], v[172:173], -v[208:209]
	v_add_f64 v[208:209], v[168:169], -v[202:203]
	v_fma_f64 v[202:203], v[184:185], 2.0, -v[148:149]
	v_fma_f64 v[184:185], v[162:163], 2.0, -v[216:217]
	v_add_f64 v[162:163], v[176:177], -v[210:211]
	v_add_f64 v[146:147], v[178:179], -v[146:147]
	;; [unrolled: 1-line block ×3, first 2 shown]
	v_fma_f64 v[188:189], v[144:145], 2.0, -v[212:213]
	v_add_f64 v[144:145], v[174:175], -v[158:159]
	v_add_f64 v[170:171], v[186:187], -v[154:155]
	v_fma_f64 v[176:177], v[176:177], 2.0, -v[162:163]
	v_fma_f64 v[196:197], v[178:179], 2.0, -v[146:147]
	;; [unrolled: 1-line block ×3, first 2 shown]
	v_add_f64 v[164:165], v[180:181], -v[156:157]
	v_add_f64 v[150:151], v[182:183], -v[150:151]
	v_fma_f64 v[158:159], v[172:173], 2.0, -v[142:143]
	v_fma_f64 v[172:173], v[174:175], 2.0, -v[144:145]
	;; [unrolled: 1-line block ×5, first 2 shown]
	v_add_f64 v[174:175], v[152:153], -v[144:145]
	v_add_f64 v[180:181], v[212:213], v[142:143]
	v_add_f64 v[142:143], v[208:209], -v[170:171]
	v_add_f64 v[144:145], v[204:205], v[148:149]
	v_add_f64 v[170:171], v[192:193], -v[176:177]
	v_add_f64 v[176:177], v[184:185], -v[196:197]
	;; [unrolled: 1-line block ×3, first 2 shown]
	v_add_f64 v[200:201], v[216:217], v[162:163]
	v_add_f64 v[146:147], v[210:211], -v[150:151]
	v_add_f64 v[150:151], v[220:221], v[164:165]
	v_fma_f64 v[168:169], v[168:169], 2.0, -v[208:209]
	v_fma_f64 v[178:179], v[166:167], 2.0, -v[220:221]
	v_add_f64 v[156:157], v[160:161], -v[158:159]
	v_fma_f64 v[0:1], v[152:153], 2.0, -v[174:175]
	v_fma_f64 v[154:155], v[212:213], 2.0, -v[180:181]
	;; [unrolled: 1-line block ×8, first 2 shown]
	v_add_f64 v[166:167], v[188:189], -v[172:173]
	v_add_f64 v[202:203], v[168:169], -v[202:203]
	;; [unrolled: 1-line block ×5, first 2 shown]
	v_fma_f64 v[164:165], s[12:13], v[148:149], v[0:1]
	v_fma_f64 v[172:173], s[12:13], v[152:153], v[154:155]
	;; [unrolled: 1-line block ×8, first 2 shown]
	v_fmac_f64_e32 v[164:165], s[12:13], v[152:153]
	v_fmac_f64_e32 v[172:173], s[14:15], v[148:149]
	v_add_f64 v[194:195], v[156:157], -v[214:215]
	v_add_f64 v[204:205], v[166:167], v[202:203]
	v_fmac_f64_e32 v[210:211], s[12:13], v[144:145]
	v_fmac_f64_e32 v[220:221], s[14:15], v[142:143]
	;; [unrolled: 1-line block ×4, first 2 shown]
	v_add_f64 v[212:213], v[170:171], -v[208:209]
	v_add_f64 v[216:217], v[176:177], v[218:219]
	v_fmac_f64_e32 v[222:223], s[12:13], v[150:151]
	v_fmac_f64_e32 v[224:225], s[14:15], v[146:147]
	v_fma_f64 v[150:151], s[16:17], v[182:183], v[164:165]
	v_fma_f64 v[152:153], s[16:17], v[186:187], v[172:173]
	;; [unrolled: 1-line block ×6, first 2 shown]
	v_fmac_f64_e32 v[150:151], s[18:19], v[186:187]
	v_fmac_f64_e32 v[152:153], s[22:23], v[182:183]
	;; [unrolled: 1-line block ×6, first 2 shown]
	s_and_saveexec_b64 s[10:11], s[0:1]
	s_cbranch_execz .LBB0_9
; %bb.8:
	v_fma_f64 v[236:237], v[160:161], 2.0, -v[156:157]
	v_fma_f64 v[160:161], v[168:169], 2.0, -v[202:203]
	v_add_f64 v[202:203], v[236:237], -v[160:161]
	v_fma_f64 v[184:185], v[184:185], 2.0, -v[176:177]
	v_fma_f64 v[160:161], v[178:179], 2.0, -v[208:209]
	v_add_f64 v[208:209], v[184:185], -v[160:161]
	v_fma_f64 v[160:161], v[180:181], 2.0, -v[220:221]
	v_fma_f64 v[168:169], v[200:201], 2.0, -v[224:225]
	v_fma_f64 v[180:181], s[20:21], v[168:169], v[160:161]
	v_fma_f64 v[178:179], v[196:197], 2.0, -v[222:223]
	v_fma_f64 v[240:241], v[188:189], 2.0, -v[166:167]
	;; [unrolled: 1-line block ×3, first 2 shown]
	v_fmac_f64_e32 v[180:181], s[22:23], v[178:179]
	v_add_f64 v[214:215], v[240:241], -v[188:189]
	v_fma_f64 v[188:189], v[198:199], 2.0, -v[218:219]
	v_fma_f64 v[198:199], v[160:161], 2.0, -v[180:181]
	v_fma_f64 v[160:161], v[174:175], 2.0, -v[210:211]
	v_fma_f64 v[178:179], s[20:21], v[178:179], v[160:161]
	v_fmac_f64_e32 v[178:179], s[18:19], v[168:169]
	v_fma_f64 v[196:197], v[160:161], 2.0, -v[178:179]
	v_fma_f64 v[160:161], v[166:167], 2.0, -v[204:205]
	v_fma_f64 v[174:175], v[176:177], 2.0, -v[216:217]
	v_fma_f64 v[168:169], s[12:13], v[174:175], v[160:161]
	v_fma_f64 v[166:167], v[170:171], 2.0, -v[212:213]
	v_fma_f64 v[156:157], v[156:157], 2.0, -v[194:195]
	v_fmac_f64_e32 v[168:169], s[14:15], v[166:167]
	v_fma_f64 v[166:167], s[12:13], v[166:167], v[156:157]
	v_fmac_f64_e32 v[166:167], s[12:13], v[174:175]
	v_fma_f64 v[154:155], v[154:155], 2.0, -v[172:173]
	v_fma_f64 v[162:163], v[162:163], 2.0, -v[186:187]
	;; [unrolled: 1-line block ×3, first 2 shown]
	v_fma_f64 v[156:157], s[18:19], v[162:163], v[154:155]
	v_fma_f64 v[158:159], v[158:159], 2.0, -v[182:183]
	v_fmac_f64_e32 v[156:157], s[16:17], v[158:159]
	v_fma_f64 v[0:1], v[0:1], 2.0, -v[164:165]
	v_fma_f64 v[176:177], v[160:161], 2.0, -v[168:169]
	;; [unrolled: 1-line block ×3, first 2 shown]
	v_fma_f64 v[154:155], s[18:19], v[158:159], v[0:1]
	v_fmac_f64_e32 v[154:155], s[20:21], v[162:163]
	v_fma_f64 v[192:193], v[192:193], 2.0, -v[170:171]
	v_fma_f64 v[158:159], v[0:1], 2.0, -v[154:155]
	;; [unrolled: 1-line block ×5, first 2 shown]
	v_add_f64 v[218:219], v[192:193], -v[188:189]
	v_add_f64 v[164:165], v[0:1], -v[162:163]
	v_fma_f64 v[254:255], v[172:173], 2.0, -v[152:153]
	v_fma_f64 v[172:173], v[0:1], 2.0, -v[164:165]
	;; [unrolled: 1-line block ×4, first 2 shown]
	v_add_f64 v[188:189], v[202:203], -v[208:209]
	v_add_f64 v[162:163], v[0:1], -v[162:163]
	v_add_f64 v[190:191], v[214:215], v[218:219]
	v_mov_b32_e32 v2, v232
	v_fma_f64 v[232:233], v[202:203], 2.0, -v[188:189]
	v_fma_f64 v[170:171], v[0:1], 2.0, -v[162:163]
	;; [unrolled: 1-line block ×3, first 2 shown]
	ds_write_b128 v227, v[170:173]
	ds_write_b128 v226, v[158:161] offset:416
	ds_write_b128 v226, v[174:177] offset:832
	;; [unrolled: 1-line block ×4, first 2 shown]
	v_mov_b32_e32 v232, v2
	v_fma_f64 v[246:247], v[220:221], 2.0, -v[144:145]
	v_fma_f64 v[244:245], v[210:211], 2.0, -v[142:143]
	v_fma_f64 v[250:251], v[204:205], 2.0, -v[148:149]
	v_fma_f64 v[248:249], v[194:195], 2.0, -v[146:147]
	ds_write_b128 v226, v[252:255] offset:2080
	ds_write_b128 v226, v[248:251] offset:2496
	;; [unrolled: 1-line block ×11, first 2 shown]
.LBB0_9:
	s_or_b64 exec, exec, s[10:11]
	s_add_u32 s8, s8, 0x1a00
	s_addc_u32 s9, s9, 0
	s_waitcnt lgkmcnt(0)
	; wave barrier
	s_waitcnt lgkmcnt(0)
	global_load_dwordx4 v[158:161], v230, s[8:9]
	ds_read_b128 v[154:157], v227
	s_mov_b32 s20, 0x4267c47c
	s_mov_b32 s22, 0xe00740e9
	;; [unrolled: 1-line block ×33, first 2 shown]
	s_waitcnt vmcnt(0) lgkmcnt(0)
	v_mul_f64 v[0:1], v[156:157], v[160:161]
	v_mul_f64 v[164:165], v[154:155], v[160:161]
	v_fma_f64 v[162:163], v[154:155], v[158:159], -v[0:1]
	v_fmac_f64_e32 v[164:165], v[156:157], v[158:159]
	global_load_dwordx4 v[158:161], v230, s[8:9] offset:512
	ds_write_b128 v227, v[162:165]
	ds_read_b128 v[154:157], v226 offset:512
	s_waitcnt vmcnt(0) lgkmcnt(0)
	v_mul_f64 v[0:1], v[156:157], v[160:161]
	v_mul_f64 v[164:165], v[154:155], v[160:161]
	v_fma_f64 v[162:163], v[154:155], v[158:159], -v[0:1]
	v_fmac_f64_e32 v[164:165], v[156:157], v[158:159]
	global_load_dwordx4 v[158:161], v230, s[8:9] offset:1024
	ds_read_b128 v[154:157], v226 offset:1024
	ds_write_b128 v226, v[162:165] offset:512
	s_waitcnt vmcnt(0) lgkmcnt(1)
	v_mul_f64 v[0:1], v[156:157], v[160:161]
	v_mul_f64 v[164:165], v[154:155], v[160:161]
	v_fma_f64 v[162:163], v[154:155], v[158:159], -v[0:1]
	v_fmac_f64_e32 v[164:165], v[156:157], v[158:159]
	global_load_dwordx4 v[158:161], v230, s[8:9] offset:1536
	ds_read_b128 v[154:157], v226 offset:1536
	ds_write_b128 v226, v[162:165] offset:1024
	;; [unrolled: 8-line block ×4, first 2 shown]
	s_waitcnt vmcnt(0) lgkmcnt(1)
	v_mul_f64 v[0:1], v[156:157], v[160:161]
	v_mul_f64 v[164:165], v[154:155], v[160:161]
	v_fma_f64 v[162:163], v[154:155], v[158:159], -v[0:1]
	v_fmac_f64_e32 v[164:165], v[156:157], v[158:159]
	global_load_dwordx4 v[158:161], v230, s[8:9] offset:3072
	v_lshlrev_b32_e32 v0, 4, v243
	v_add_u32_e32 v229, v0, v230
	ds_read_b128 v[154:157], v229 offset:3072
	ds_write_b128 v226, v[162:165] offset:2560
	v_accvgpr_write_b32 a12, v0
	s_waitcnt vmcnt(0) lgkmcnt(1)
	v_mul_f64 v[162:163], v[156:157], v[160:161]
	v_mul_f64 v[164:165], v[154:155], v[160:161]
	v_fma_f64 v[162:163], v[154:155], v[158:159], -v[162:163]
	v_fmac_f64_e32 v[164:165], v[156:157], v[158:159]
	global_load_dwordx4 v[158:161], v230, s[8:9] offset:3584
	ds_read_b128 v[154:157], v226 offset:3584
	ds_write_b128 v229, v[162:165] offset:3072
	s_waitcnt vmcnt(0) lgkmcnt(1)
	v_mul_f64 v[162:163], v[156:157], v[160:161]
	v_mul_f64 v[164:165], v[154:155], v[160:161]
	v_fma_f64 v[162:163], v[154:155], v[158:159], -v[162:163]
	v_fmac_f64_e32 v[164:165], v[156:157], v[158:159]
	global_load_dwordx4 v[158:161], v232, s[8:9]
	ds_read_b128 v[154:157], v226 offset:4096
	ds_write_b128 v226, v[162:165] offset:3584
	s_waitcnt vmcnt(0) lgkmcnt(1)
	v_mul_f64 v[162:163], v[156:157], v[160:161]
	v_mul_f64 v[164:165], v[154:155], v[160:161]
	v_fma_f64 v[162:163], v[154:155], v[158:159], -v[162:163]
	v_fmac_f64_e32 v[164:165], v[156:157], v[158:159]
	global_load_dwordx4 v[158:161], v242, s[8:9]
	;; [unrolled: 8-line block ×5, first 2 shown]
	ds_read_b128 v[154:157], v226 offset:6144
	ds_write_b128 v226, v[162:165] offset:5632
	s_mov_b32 s8, 0x66966769
	s_mov_b32 s9, 0xbfefc445
	;; [unrolled: 1-line block ×3, first 2 shown]
	s_waitcnt vmcnt(0) lgkmcnt(1)
	v_mul_f64 v[162:163], v[156:157], v[160:161]
	v_mul_f64 v[164:165], v[154:155], v[160:161]
	v_fma_f64 v[162:163], v[154:155], v[158:159], -v[162:163]
	v_fmac_f64_e32 v[164:165], v[156:157], v[158:159]
	ds_write_b128 v226, v[162:165] offset:6144
	s_waitcnt lgkmcnt(0)
	; wave barrier
	s_waitcnt lgkmcnt(0)
	ds_read_b128 v[186:189], v227
	ds_read_b128 v[198:201], v226 offset:512
	ds_read_b128 v[190:193], v226 offset:1024
	;; [unrolled: 1-line block ×12, first 2 shown]
	s_waitcnt lgkmcnt(11)
	v_add_f64 v[154:155], v[186:187], v[198:199]
	v_add_f64 v[156:157], v[188:189], v[200:201]
	s_waitcnt lgkmcnt(10)
	v_add_f64 v[154:155], v[154:155], v[190:191]
	v_add_f64 v[156:157], v[156:157], v[192:193]
	;; [unrolled: 3-line block ×10, first 2 shown]
	s_waitcnt lgkmcnt(1)
	v_add_f64 v[154:155], v[154:155], v[202:203]
	s_waitcnt lgkmcnt(0)
	v_add_f64 v[214:215], v[200:201], v[210:211]
	v_add_f64 v[200:201], v[200:201], -v[210:211]
	v_add_f64 v[156:157], v[156:157], v[204:205]
	v_add_f64 v[154:155], v[154:155], v[208:209]
	;; [unrolled: 1-line block ×3, first 2 shown]
	v_add_f64 v[198:199], v[198:199], -v[208:209]
	v_mul_f64 v[208:209], v[200:201], s[20:21]
	v_mul_f64 v[216:217], v[214:215], s[22:23]
	;; [unrolled: 1-line block ×12, first 2 shown]
	v_add_f64 v[156:157], v[156:157], v[210:211]
	v_fma_f64 v[210:211], s[22:23], v[212:213], v[208:209]
	v_fma_f64 v[218:219], s[24:25], v[198:199], v[216:217]
	v_fma_f64 v[208:209], v[212:213], s[22:23], -v[208:209]
	v_fmac_f64_e32 v[216:217], s[20:21], v[198:199]
	v_fma_f64 v[222:223], s[16:17], v[212:213], v[220:221]
	v_fma_f64 v[232:233], s[18:19], v[198:199], v[224:225]
	v_fma_f64 v[220:221], v[212:213], s[16:17], -v[220:221]
	v_fmac_f64_e32 v[224:225], s[14:15], v[198:199]
	;; [unrolled: 4-line block ×6, first 2 shown]
	v_add_f64 v[198:199], v[192:193], v[204:205]
	v_add_f64 v[192:193], v[192:193], -v[204:205]
	v_add_f64 v[210:211], v[186:187], v[210:211]
	v_add_f64 v[218:219], v[188:189], v[218:219]
	;; [unrolled: 1-line block ×25, first 2 shown]
	v_mul_f64 v[200:201], v[192:193], s[14:15]
	v_add_f64 v[190:191], v[190:191], -v[202:203]
	v_fma_f64 v[202:203], s[16:17], v[188:189], v[200:201]
	v_fma_f64 v[200:201], v[188:189], s[16:17], -v[200:201]
	v_mul_f64 v[204:205], v[198:199], s[16:17]
	v_add_f64 v[200:201], v[200:201], v[208:209]
	v_mul_f64 v[208:209], v[192:193], s[26:27]
	v_add_f64 v[202:203], v[202:203], v[210:211]
	v_fma_f64 v[210:211], s[18:19], v[190:191], v[204:205]
	v_fmac_f64_e32 v[204:205], s[14:15], v[190:191]
	v_fma_f64 v[212:213], s[28:29], v[188:189], v[208:209]
	v_mul_f64 v[214:215], v[198:199], s[28:29]
	v_add_f64 v[210:211], v[210:211], v[218:219]
	v_add_f64 v[204:205], v[204:205], v[216:217]
	;; [unrolled: 1-line block ×3, first 2 shown]
	v_fma_f64 v[216:217], s[30:31], v[190:191], v[214:215]
	v_fma_f64 v[208:209], v[188:189], s[28:29], -v[208:209]
	v_fmac_f64_e32 v[214:215], s[26:27], v[190:191]
	v_mul_f64 v[218:219], v[192:193], s[40:41]
	v_mul_f64 v[222:223], v[198:199], s[42:43]
	v_add_f64 v[216:217], v[216:217], v[232:233]
	v_add_f64 v[208:209], v[208:209], v[220:221]
	;; [unrolled: 1-line block ×3, first 2 shown]
	v_fma_f64 v[220:221], s[42:43], v[188:189], v[218:219]
	v_fma_f64 v[224:225], s[44:45], v[190:191], v[222:223]
	v_fma_f64 v[218:219], v[188:189], s[42:43], -v[218:219]
	v_mul_f64 v[232:233], v[192:193], s[38:39]
	v_add_f64 v[224:225], v[224:225], v[244:245]
	v_add_f64 v[218:219], v[218:219], v[234:235]
	v_fma_f64 v[234:235], s[36:37], v[188:189], v[232:233]
	v_fma_f64 v[232:233], v[188:189], s[36:37], -v[232:233]
	v_mul_f64 v[244:245], v[192:193], s[12:13]
	v_add_f64 v[232:233], v[232:233], v[246:247]
	v_fma_f64 v[246:247], s[10:11], v[188:189], v[244:245]
	v_add_f64 v[230:231], v[246:247], v[230:231]
	v_mul_f64 v[246:247], v[198:199], s[10:11]
	v_add_f64 v[234:235], v[234:235], v[248:249]
	v_fma_f64 v[248:249], s[8:9], v[190:191], v[246:247]
	v_fmac_f64_e32 v[246:247], s[12:13], v[190:191]
	v_mul_f64 v[192:193], v[192:193], s[24:25]
	v_add_f64 v[220:221], v[220:221], v[236:237]
	v_fmac_f64_e32 v[222:223], s[40:41], v[190:191]
	v_mul_f64 v[236:237], v[198:199], s[36:37]
	v_add_f64 v[242:243], v[246:247], v[242:243]
	v_fma_f64 v[246:247], s[22:23], v[188:189], v[192:193]
	v_mul_f64 v[198:199], v[198:199], s[22:23]
	v_add_f64 v[222:223], v[222:223], v[240:241]
	v_fma_f64 v[240:241], s[34:35], v[190:191], v[236:237]
	v_fmac_f64_e32 v[236:237], s[38:39], v[190:191]
	v_fma_f64 v[244:245], v[188:189], s[10:11], -v[244:245]
	v_add_f64 v[0:1], v[246:247], v[0:1]
	v_fma_f64 v[246:247], s[20:21], v[190:191], v[198:199]
	v_fma_f64 v[188:189], v[188:189], s[22:23], -v[192:193]
	v_fmac_f64_e32 v[198:199], s[24:25], v[190:191]
	v_add_f64 v[190:191], v[184:185], v[196:197]
	v_add_f64 v[184:185], v[184:185], -v[196:197]
	v_add_f64 v[4:5], v[188:189], v[4:5]
	v_add_f64 v[188:189], v[182:183], v[194:195]
	v_mul_f64 v[192:193], v[184:185], s[8:9]
	v_add_f64 v[182:183], v[182:183], -v[194:195]
	v_fma_f64 v[194:195], s[10:11], v[188:189], v[192:193]
	v_fma_f64 v[192:193], v[188:189], s[10:11], -v[192:193]
	v_add_f64 v[192:193], v[192:193], v[200:201]
	v_mul_f64 v[200:201], v[184:185], s[40:41]
	v_add_f64 v[194:195], v[194:195], v[202:203]
	v_mul_f64 v[196:197], v[190:191], s[10:11]
	v_fma_f64 v[202:203], s[42:43], v[188:189], v[200:201]
	v_fma_f64 v[200:201], v[188:189], s[42:43], -v[200:201]
	v_add_f64 v[186:187], v[198:199], v[186:187]
	v_fma_f64 v[198:199], s[12:13], v[182:183], v[196:197]
	v_fmac_f64_e32 v[196:197], s[8:9], v[182:183]
	v_add_f64 v[200:201], v[200:201], v[208:209]
	v_mul_f64 v[208:209], v[184:185], s[30:31]
	v_add_f64 v[196:197], v[196:197], v[204:205]
	v_add_f64 v[202:203], v[202:203], v[212:213]
	v_mul_f64 v[204:205], v[190:191], s[42:43]
	v_fma_f64 v[212:213], s[28:29], v[188:189], v[208:209]
	v_fma_f64 v[208:209], v[188:189], s[28:29], -v[208:209]
	v_add_f64 v[198:199], v[198:199], v[210:211]
	v_fma_f64 v[210:211], s[44:45], v[182:183], v[204:205]
	v_fmac_f64_e32 v[204:205], s[40:41], v[182:183]
	v_add_f64 v[208:209], v[208:209], v[218:219]
	v_mul_f64 v[218:219], v[184:185], s[24:25]
	v_add_f64 v[204:205], v[204:205], v[214:215]
	;; [unrolled: 10-line block ×3, first 2 shown]
	v_add_f64 v[220:221], v[220:221], v[234:235]
	v_mul_f64 v[222:223], v[190:191], s[22:23]
	v_fma_f64 v[234:235], s[16:17], v[188:189], v[232:233]
	v_add_f64 v[236:237], v[236:237], v[250:251]
	v_add_f64 v[216:217], v[216:217], v[224:225]
	v_fma_f64 v[224:225], s[20:21], v[182:183], v[222:223]
	v_fmac_f64_e32 v[222:223], s[24:25], v[182:183]
	v_add_f64 v[230:231], v[234:235], v[230:231]
	v_mul_f64 v[234:235], v[190:191], s[16:17]
	v_add_f64 v[238:239], v[248:249], v[238:239]
	v_add_f64 v[222:223], v[222:223], v[236:237]
	v_fma_f64 v[236:237], s[18:19], v[182:183], v[234:235]
	v_mul_f64 v[184:185], v[184:185], s[34:35]
	v_add_f64 v[236:237], v[236:237], v[238:239]
	v_fma_f64 v[238:239], s[36:37], v[188:189], v[184:185]
	v_mul_f64 v[190:191], v[190:191], s[36:37]
	v_add_f64 v[0:1], v[238:239], v[0:1]
	v_fma_f64 v[238:239], s[38:39], v[182:183], v[190:191]
	v_fmac_f64_e32 v[190:191], s[34:35], v[182:183]
	v_fmac_f64_e32 v[234:235], s[14:15], v[182:183]
	v_fma_f64 v[184:185], v[188:189], s[36:37], -v[184:185]
	v_add_f64 v[182:183], v[190:191], v[186:187]
	v_add_f64 v[186:187], v[176:177], v[180:181]
	v_add_f64 v[176:177], v[176:177], -v[180:181]
	v_add_f64 v[4:5], v[184:185], v[4:5]
	v_add_f64 v[184:185], v[174:175], v[178:179]
	v_add_f64 v[174:175], v[174:175], -v[178:179]
	v_mul_f64 v[178:179], v[176:177], s[26:27]
	v_fma_f64 v[180:181], s[28:29], v[184:185], v[178:179]
	v_fma_f64 v[178:179], v[184:185], s[28:29], -v[178:179]
	v_fma_f64 v[232:233], v[188:189], s[16:17], -v[232:233]
	v_mul_f64 v[188:189], v[186:187], s[28:29]
	v_add_f64 v[178:179], v[178:179], v[192:193]
	v_mul_f64 v[192:193], v[176:177], s[38:39]
	v_add_f64 v[180:181], v[180:181], v[194:195]
	v_fma_f64 v[190:191], s[30:31], v[174:175], v[188:189]
	v_fmac_f64_e32 v[188:189], s[26:27], v[174:175]
	v_fma_f64 v[194:195], s[36:37], v[184:185], v[192:193]
	v_fma_f64 v[192:193], v[184:185], s[36:37], -v[192:193]
	v_add_f64 v[188:189], v[188:189], v[196:197]
	v_mul_f64 v[196:197], v[186:187], s[36:37]
	v_add_f64 v[192:193], v[192:193], v[200:201]
	v_mul_f64 v[200:201], v[176:177], s[24:25]
	v_add_f64 v[190:191], v[190:191], v[198:199]
	v_add_f64 v[194:195], v[194:195], v[202:203]
	v_fma_f64 v[198:199], s[34:35], v[174:175], v[196:197]
	v_fmac_f64_e32 v[196:197], s[38:39], v[174:175]
	v_fma_f64 v[202:203], s[22:23], v[184:185], v[200:201]
	v_fma_f64 v[200:201], v[184:185], s[22:23], -v[200:201]
	v_add_f64 v[196:197], v[196:197], v[204:205]
	v_mul_f64 v[204:205], v[186:187], s[22:23]
	v_add_f64 v[200:201], v[200:201], v[208:209]
	v_mul_f64 v[208:209], v[176:177], s[8:9]
	v_add_f64 v[198:199], v[198:199], v[210:211]
	;; [unrolled: 10-line block ×3, first 2 shown]
	v_add_f64 v[212:213], v[212:213], v[220:221]
	v_fma_f64 v[216:217], s[12:13], v[174:175], v[214:215]
	v_fmac_f64_e32 v[214:215], s[8:9], v[174:175]
	v_fma_f64 v[220:221], s[42:43], v[184:185], v[218:219]
	v_mul_f64 v[176:177], v[176:177], s[18:19]
	v_add_f64 v[240:241], v[240:241], v[252:253]
	v_add_f64 v[214:215], v[214:215], v[222:223]
	;; [unrolled: 1-line block ×3, first 2 shown]
	v_mul_f64 v[222:223], v[186:187], s[42:43]
	v_fma_f64 v[230:231], s[16:17], v[184:185], v[176:177]
	v_mul_f64 v[186:187], v[186:187], s[16:17]
	v_add_f64 v[224:225], v[224:225], v[240:241]
	v_add_f64 v[0:1], v[230:231], v[0:1]
	v_fma_f64 v[230:231], s[14:15], v[174:175], v[186:187]
	v_fmac_f64_e32 v[186:187], s[18:19], v[174:175]
	v_add_f64 v[216:217], v[216:217], v[224:225]
	v_fma_f64 v[224:225], s[40:41], v[174:175], v[222:223]
	v_fmac_f64_e32 v[222:223], s[44:45], v[174:175]
	v_fma_f64 v[176:177], v[184:185], s[16:17], -v[176:177]
	v_add_f64 v[174:175], v[186:187], v[182:183]
	v_add_f64 v[182:183], v[168:169], v[172:173]
	v_add_f64 v[168:169], v[168:169], -v[172:173]
	v_add_f64 v[4:5], v[176:177], v[4:5]
	v_add_f64 v[176:177], v[166:167], v[170:171]
	v_add_f64 v[166:167], v[166:167], -v[170:171]
	v_mul_f64 v[170:171], v[168:169], s[34:35]
	v_fma_f64 v[172:173], s[36:37], v[176:177], v[170:171]
	v_add_f64 v[172:173], v[172:173], v[180:181]
	v_mul_f64 v[180:181], v[182:183], s[36:37]
	v_fma_f64 v[218:219], v[184:185], s[42:43], -v[218:219]
	v_fma_f64 v[184:185], s[38:39], v[166:167], v[180:181]
	v_fma_f64 v[170:171], v[176:177], s[36:37], -v[170:171]
	v_fmac_f64_e32 v[180:181], s[34:35], v[166:167]
	v_add_f64 v[170:171], v[170:171], v[178:179]
	v_add_f64 v[178:179], v[180:181], v[188:189]
	v_mul_f64 v[180:181], v[168:169], s[12:13]
	v_mul_f64 v[188:189], v[182:183], s[10:11]
	v_add_f64 v[184:185], v[184:185], v[190:191]
	v_fma_f64 v[186:187], s[10:11], v[176:177], v[180:181]
	v_fma_f64 v[190:191], s[8:9], v[166:167], v[188:189]
	v_fma_f64 v[180:181], v[176:177], s[10:11], -v[180:181]
	v_fmac_f64_e32 v[188:189], s[12:13], v[166:167]
	v_add_f64 v[180:181], v[180:181], v[192:193]
	v_add_f64 v[188:189], v[188:189], v[196:197]
	v_mul_f64 v[192:193], v[168:169], s[14:15]
	v_mul_f64 v[196:197], v[182:183], s[16:17]
	v_add_f64 v[186:187], v[186:187], v[194:195]
	v_add_f64 v[190:191], v[190:191], v[198:199]
	v_fma_f64 v[194:195], s[16:17], v[176:177], v[192:193]
	v_fma_f64 v[198:199], s[18:19], v[166:167], v[196:197]
	v_fma_f64 v[192:193], v[176:177], s[16:17], -v[192:193]
	v_fmac_f64_e32 v[196:197], s[14:15], v[166:167]
	v_add_f64 v[192:193], v[192:193], v[200:201]
	v_add_f64 v[196:197], v[196:197], v[204:205]
	v_mul_f64 v[200:201], v[168:169], s[44:45]
	v_mul_f64 v[204:205], v[182:183], s[42:43]
	v_add_f64 v[2:3], v[246:247], v[2:3]
	v_add_f64 v[194:195], v[194:195], v[202:203]
	v_add_f64 v[198:199], v[198:199], v[210:211]
	v_fma_f64 v[202:203], s[42:43], v[176:177], v[200:201]
	v_fma_f64 v[210:211], s[40:41], v[166:167], v[204:205]
	v_fma_f64 v[200:201], v[176:177], s[42:43], -v[200:201]
	v_fmac_f64_e32 v[204:205], s[44:45], v[166:167]
	v_add_f64 v[2:3], v[238:239], v[2:3]
	v_add_f64 v[200:201], v[200:201], v[208:209]
	;; [unrolled: 1-line block ×3, first 2 shown]
	v_mul_f64 v[208:209], v[168:169], s[24:25]
	v_mul_f64 v[214:215], v[182:183], s[22:23]
	v_add_f64 v[244:245], v[244:245], v[254:255]
	v_add_f64 v[234:235], v[234:235], v[242:243]
	;; [unrolled: 1-line block ×6, first 2 shown]
	v_fma_f64 v[212:213], s[22:23], v[176:177], v[208:209]
	v_fma_f64 v[216:217], s[20:21], v[166:167], v[214:215]
	v_add_f64 v[230:231], v[160:161], -v[164:165]
	v_add_f64 v[232:233], v[232:233], v[244:245]
	v_add_f64 v[222:223], v[222:223], v[234:235]
	v_add_f64 v[212:213], v[212:213], v[220:221]
	v_add_f64 v[216:217], v[216:217], v[224:225]
	v_fmac_f64_e32 v[214:215], s[24:25], v[166:167]
	v_add_f64 v[220:221], v[158:159], v[162:163]
	v_add_f64 v[224:225], v[158:159], -v[162:163]
	v_mul_f64 v[158:159], v[230:231], s[40:41]
	v_add_f64 v[218:219], v[218:219], v[232:233]
	v_fma_f64 v[208:209], v[176:177], s[22:23], -v[208:209]
	v_add_f64 v[214:215], v[214:215], v[222:223]
	v_mul_f64 v[168:169], v[168:169], s[26:27]
	v_add_f64 v[222:223], v[160:161], v[164:165]
	v_fma_f64 v[160:161], s[42:43], v[220:221], v[158:159]
	v_fma_f64 v[158:159], v[220:221], s[42:43], -v[158:159]
	v_add_f64 v[208:209], v[208:209], v[218:219]
	v_fma_f64 v[218:219], s[28:29], v[176:177], v[168:169]
	v_mul_f64 v[182:183], v[182:183], s[28:29]
	v_add_f64 v[158:159], v[158:159], v[170:171]
	v_mul_f64 v[170:171], v[230:231], s[24:25]
	v_add_f64 v[0:1], v[218:219], v[0:1]
	v_fma_f64 v[218:219], s[30:31], v[166:167], v[182:183]
	v_fmac_f64_e32 v[182:183], s[26:27], v[166:167]
	v_fma_f64 v[166:167], s[22:23], v[220:221], v[170:171]
	v_add_f64 v[166:167], v[166:167], v[186:187]
	v_fma_f64 v[170:171], v[220:221], s[22:23], -v[170:171]
	v_mul_f64 v[186:187], v[230:231], s[18:19]
	v_add_f64 v[2:3], v[218:219], v[2:3]
	v_add_f64 v[218:219], v[182:183], v[174:175]
	;; [unrolled: 1-line block ×3, first 2 shown]
	v_mul_f64 v[160:161], v[222:223], s[42:43]
	v_add_f64 v[170:171], v[170:171], v[180:181]
	v_mul_f64 v[180:181], v[222:223], s[36:37]
	v_fma_f64 v[182:183], s[16:17], v[220:221], v[186:187]
	v_fma_f64 v[168:169], v[176:177], s[28:29], -v[168:169]
	v_fma_f64 v[164:165], s[44:45], v[224:225], v[160:161]
	v_fmac_f64_e32 v[160:161], s[40:41], v[224:225]
	v_fma_f64 v[176:177], s[38:39], v[224:225], v[180:181]
	v_add_f64 v[182:183], v[182:183], v[202:203]
	v_mul_f64 v[202:203], v[230:231], s[12:13]
	v_add_f64 v[160:161], v[160:161], v[178:179]
	v_mul_f64 v[172:173], v[222:223], s[22:23]
	v_mul_f64 v[178:179], v[230:231], s[34:35]
	v_add_f64 v[176:177], v[176:177], v[198:199]
	v_fma_f64 v[198:199], s[10:11], v[220:221], v[202:203]
	v_add_f64 v[4:5], v[168:169], v[4:5]
	v_fma_f64 v[168:169], s[20:21], v[224:225], v[172:173]
	v_fmac_f64_e32 v[172:173], s[24:25], v[224:225]
	v_fma_f64 v[174:175], s[36:37], v[220:221], v[178:179]
	v_fmac_f64_e32 v[180:181], s[34:35], v[224:225]
	v_fma_f64 v[186:187], v[220:221], s[16:17], -v[186:187]
	v_add_f64 v[198:199], v[198:199], v[0:1]
	v_mul_f64 v[0:1], v[222:223], s[10:11]
	v_add_f64 v[172:173], v[172:173], v[188:189]
	v_add_f64 v[174:175], v[174:175], v[194:195]
	v_fma_f64 v[178:179], v[220:221], s[36:37], -v[178:179]
	v_add_f64 v[180:181], v[180:181], v[196:197]
	v_mul_f64 v[188:189], v[222:223], s[16:17]
	v_add_f64 v[186:187], v[186:187], v[200:201]
	v_mul_f64 v[194:195], v[230:231], s[26:27]
	v_mul_f64 v[196:197], v[222:223], s[28:29]
	v_fma_f64 v[200:201], s[8:9], v[224:225], v[0:1]
	v_add_f64 v[164:165], v[164:165], v[184:185]
	v_add_f64 v[168:169], v[168:169], v[190:191]
	;; [unrolled: 1-line block ×3, first 2 shown]
	v_fma_f64 v[184:185], s[14:15], v[224:225], v[188:189]
	v_fmac_f64_e32 v[188:189], s[18:19], v[224:225]
	v_fma_f64 v[190:191], s[28:29], v[220:221], v[194:195]
	v_fma_f64 v[192:193], s[30:31], v[224:225], v[196:197]
	v_fma_f64 v[194:195], v[220:221], s[28:29], -v[194:195]
	v_fmac_f64_e32 v[196:197], s[26:27], v[224:225]
	v_add_f64 v[200:201], v[200:201], v[2:3]
	v_fma_f64 v[2:3], v[220:221], s[10:11], -v[202:203]
	v_fmac_f64_e32 v[0:1], s[12:13], v[224:225]
	v_add_f64 v[184:185], v[184:185], v[210:211]
	v_add_f64 v[188:189], v[188:189], v[204:205]
	v_add_f64 v[190:191], v[190:191], v[212:213]
	v_add_f64 v[192:193], v[192:193], v[216:217]
	v_add_f64 v[194:195], v[194:195], v[208:209]
	v_add_f64 v[196:197], v[196:197], v[214:215]
	v_add_f64 v[202:203], v[2:3], v[4:5]
	v_add_f64 v[204:205], v[0:1], v[218:219]
	s_waitcnt lgkmcnt(0)
	; wave barrier
	ds_write_b128 v228, v[154:157]
	ds_write_b128 v228, v[162:165] offset:16
	ds_write_b128 v228, v[166:169] offset:32
	;; [unrolled: 1-line block ×12, first 2 shown]
	s_waitcnt lgkmcnt(0)
	; wave barrier
	s_waitcnt lgkmcnt(0)
	ds_read_b128 v[178:181], v227
	ds_read_b128 v[198:201], v226 offset:3328
	ds_read_b128 v[174:177], v226 offset:512
	;; [unrolled: 1-line block ×11, first 2 shown]
	s_and_saveexec_b64 s[8:9], vcc
	s_cbranch_execz .LBB0_11
; %bb.10:
	ds_read_b128 v[158:161], v229 offset:3072
	ds_read_b128 v[150:153], v226 offset:6400
.LBB0_11:
	s_or_b64 exec, exec, s[8:9]
	s_waitcnt lgkmcnt(10)
	v_mul_f64 v[0:1], v[56:57], v[200:201]
	v_mul_f64 v[2:3], v[56:57], v[198:199]
	v_fmac_f64_e32 v[0:1], v[54:55], v[198:199]
	v_fma_f64 v[2:3], v[54:55], v[200:201], -v[2:3]
	s_waitcnt lgkmcnt(8)
	v_mul_f64 v[54:55], v[60:61], v[202:203]
	v_fma_f64 v[198:199], v[58:59], v[204:205], -v[54:55]
	s_waitcnt lgkmcnt(6)
	v_mul_f64 v[200:201], v[64:65], v[192:193]
	v_mul_f64 v[54:55], v[64:65], v[190:191]
	v_fmac_f64_e32 v[200:201], v[62:63], v[190:191]
	v_fma_f64 v[62:63], v[62:63], v[192:193], -v[54:55]
	s_waitcnt lgkmcnt(4)
	v_mul_f64 v[190:191], v[68:69], v[196:197]
	v_mul_f64 v[54:55], v[68:69], v[194:195]
	v_fmac_f64_e32 v[190:191], v[66:67], v[194:195]
	v_fma_f64 v[192:193], v[66:67], v[196:197], -v[54:55]
	s_waitcnt lgkmcnt(2)
	v_mul_f64 v[194:195], v[72:73], v[184:185]
	v_mul_f64 v[54:55], v[72:73], v[182:183]
	;; [unrolled: 1-line block ×3, first 2 shown]
	v_fmac_f64_e32 v[194:195], v[70:71], v[182:183]
	v_fma_f64 v[182:183], v[70:71], v[184:185], -v[54:55]
	s_waitcnt lgkmcnt(0)
	v_mul_f64 v[184:185], v[80:81], v[188:189]
	v_mul_f64 v[54:55], v[80:81], v[186:187]
	v_fmac_f64_e32 v[4:5], v[58:59], v[202:203]
	v_fmac_f64_e32 v[184:185], v[78:79], v[186:187]
	v_fma_f64 v[186:187], v[78:79], v[188:189], -v[54:55]
	v_mul_f64 v[54:55], v[92:93], v[150:151]
	v_add_f64 v[58:59], v[178:179], -v[0:1]
	v_add_f64 v[60:61], v[180:181], -v[2:3]
	v_mul_f64 v[188:189], v[92:93], v[152:153]
	v_fma_f64 v[196:197], v[90:91], v[152:153], -v[54:55]
	v_fma_f64 v[54:55], v[178:179], 2.0, -v[58:59]
	v_fma_f64 v[56:57], v[180:181], 2.0, -v[60:61]
	v_add_f64 v[66:67], v[174:175], -v[4:5]
	v_add_f64 v[68:69], v[176:177], -v[198:199]
	v_accvgpr_read_b32 v0, a5
	v_fmac_f64_e32 v[188:189], v[90:91], v[150:151]
	v_fma_f64 v[78:79], v[174:175], 2.0, -v[66:67]
	v_fma_f64 v[80:81], v[176:177], 2.0, -v[68:69]
	v_add_f64 v[70:71], v[162:163], -v[200:201]
	v_add_f64 v[72:73], v[164:165], -v[62:63]
	;; [unrolled: 1-line block ×4, first 2 shown]
	s_waitcnt lgkmcnt(0)
	; wave barrier
	ds_write_b128 v0, v[54:57]
	ds_write_b128 v0, v[58:61] offset:208
	v_accvgpr_read_b32 v0, a6
	v_fma_f64 v[62:63], v[162:163], 2.0, -v[70:71]
	v_fma_f64 v[64:65], v[164:165], 2.0, -v[72:73]
	;; [unrolled: 1-line block ×4, first 2 shown]
	v_add_f64 v[154:155], v[166:167], -v[194:195]
	v_add_f64 v[156:157], v[168:169], -v[182:183]
	ds_write_b128 v0, v[78:81]
	ds_write_b128 v0, v[66:69] offset:208
	v_accvgpr_read_b32 v0, a7
	v_fma_f64 v[90:91], v[166:167], 2.0, -v[154:155]
	v_fma_f64 v[92:93], v[168:169], 2.0, -v[156:157]
	v_add_f64 v[166:167], v[170:171], -v[184:185]
	v_add_f64 v[168:169], v[172:173], -v[186:187]
	ds_write_b128 v0, v[62:65]
	ds_write_b128 v0, v[70:73] offset:208
	v_accvgpr_read_b32 v0, a8
	v_fma_f64 v[174:175], v[170:171], 2.0, -v[166:167]
	v_fma_f64 v[176:177], v[172:173], 2.0, -v[168:169]
	;; [unrolled: 7-line block ×3, first 2 shown]
	ds_write_b128 v0, v[90:93]
	ds_write_b128 v0, v[154:157] offset:208
	v_accvgpr_read_b32 v0, a10
	ds_write_b128 v0, v[174:177]
	ds_write_b128 v0, v[166:169] offset:208
	s_and_saveexec_b64 s[8:9], vcc
	s_cbranch_execz .LBB0_13
; %bb.12:
	v_accvgpr_read_b32 v0, a4
	v_accvgpr_read_b32 v1, a11
	v_add_u32_sdwa v0, v1, v0 dst_sel:DWORD dst_unused:UNUSED_PAD src0_sel:DWORD src1_sel:BYTE_0
	v_accvgpr_read_b32 v1, a12
	v_lshl_add_u32 v0, v0, 4, v1
	ds_write_b128 v0, v[158:161]
	ds_write_b128 v0, v[170:173] offset:208
.LBB0_13:
	s_or_b64 exec, exec, s[8:9]
	s_waitcnt lgkmcnt(0)
	; wave barrier
	s_waitcnt lgkmcnt(0)
	s_and_saveexec_b64 s[8:9], s[0:1]
	s_cbranch_execz .LBB0_15
; %bb.14:
	ds_read_b128 v[54:57], v227
	ds_read_b128 v[58:61], v226 offset:416
	ds_read_b128 v[78:81], v226 offset:832
	;; [unrolled: 1-line block ×15, first 2 shown]
.LBB0_15:
	s_or_b64 exec, exec, s[8:9]
	s_and_saveexec_b64 s[8:9], s[0:1]
	s_cbranch_execz .LBB0_17
; %bb.16:
	s_waitcnt lgkmcnt(9)
	v_mul_f64 v[4:5], v[108:109], v[164:165]
	s_waitcnt lgkmcnt(1)
	v_mul_f64 v[178:179], v[136:137], v[148:149]
	v_mul_f64 v[108:109], v[108:109], v[162:163]
	v_fmac_f64_e32 v[4:5], v[106:107], v[162:163]
	v_fmac_f64_e32 v[178:179], v[134:135], v[146:147]
	v_fma_f64 v[106:107], v[106:107], v[164:165], -v[108:109]
	v_mul_f64 v[108:109], v[136:137], v[146:147]
	v_mul_f64 v[146:147], v[96:97], v[58:59]
	;; [unrolled: 1-line block ×3, first 2 shown]
	v_fmac_f64_e32 v[96:97], v[94:95], v[58:59]
	v_mul_f64 v[58:59], v[128:129], v[156:157]
	v_mul_f64 v[0:1], v[100:101], v[78:79]
	v_fmac_f64_e32 v[58:59], v[126:127], v[154:155]
	v_fma_f64 v[0:1], v[98:99], v[80:81], -v[0:1]
	v_mul_f64 v[184:185], v[76:77], v[64:65]
	v_mul_f64 v[80:81], v[100:101], v[80:81]
	;; [unrolled: 1-line block ×3, first 2 shown]
	v_fma_f64 v[146:147], v[94:95], v[60:61], -v[146:147]
	v_add_f64 v[94:95], v[96:97], -v[58:59]
	v_mul_f64 v[58:59], v[76:77], v[62:63]
	v_mul_f64 v[2:3], v[124:125], v[174:175]
	v_fmac_f64_e32 v[184:185], v[74:75], v[62:63]
	v_fmac_f64_e32 v[80:81], v[98:99], v[78:79]
	v_mul_f64 v[78:79], v[124:125], v[176:177]
	v_fma_f64 v[100:101], v[86:87], v[68:69], -v[100:101]
	v_mul_f64 v[124:125], v[104:105], v[152:153]
	v_mul_f64 v[162:163], v[116:117], v[72:73]
	;; [unrolled: 1-line block ×4, first 2 shown]
	v_fma_f64 v[62:63], v[74:75], v[64:65], -v[58:59]
	v_mul_f64 v[58:59], v[112:113], v[158:159]
	v_fma_f64 v[2:3], v[122:123], v[176:177], -v[2:3]
	v_mul_f64 v[182:183], v[84:85], v[90:91]
	v_mul_f64 v[186:187], v[112:113], v[160:161]
	v_fma_f64 v[108:109], v[134:135], v[148:149], -v[108:109]
	v_fmac_f64_e32 v[78:79], v[122:123], v[174:175]
	v_mul_f64 v[122:123], v[120:121], v[166:167]
	v_fmac_f64_e32 v[124:125], v[102:103], v[150:151]
	s_waitcnt lgkmcnt(0)
	v_mul_f64 v[134:135], v[132:133], v[144:145]
	v_mul_f64 v[148:149], v[128:129], v[154:155]
	v_fmac_f64_e32 v[162:163], v[114:115], v[70:71]
	v_mul_f64 v[164:165], v[140:141], v[172:173]
	v_fma_f64 v[102:103], v[102:103], v[152:153], -v[104:105]
	v_mul_f64 v[104:105], v[132:133], v[142:143]
	v_fmac_f64_e32 v[68:69], v[86:87], v[66:67]
	v_mul_f64 v[66:67], v[120:121], v[168:169]
	v_mul_f64 v[70:71], v[116:117], v[70:71]
	v_fma_f64 v[58:59], v[110:111], v[160:161], -v[58:59]
	v_fma_f64 v[182:183], v[82:83], v[92:93], -v[182:183]
	v_fmac_f64_e32 v[186:187], v[110:111], v[158:159]
	v_fma_f64 v[122:123], v[118:119], v[168:169], -v[122:123]
	v_fmac_f64_e32 v[134:135], v[130:131], v[142:143]
	;; [unrolled: 2-line block ×4, first 2 shown]
	v_fma_f64 v[70:71], v[114:115], v[72:73], -v[70:71]
	v_mul_f64 v[72:73], v[140:141], v[170:171]
	v_add_f64 v[74:75], v[62:63], -v[58:59]
	v_mul_f64 v[58:59], v[84:85], v[92:93]
	v_add_f64 v[2:3], v[0:1], -v[2:3]
	v_add_f64 v[178:179], v[4:5], -v[178:179]
	;; [unrolled: 1-line block ×4, first 2 shown]
	s_mov_b32 s0, 0x667f3bcd
	v_add_f64 v[122:123], v[100:101], -v[122:123]
	v_add_f64 v[134:135], v[124:125], -v[134:135]
	;; [unrolled: 1-line block ×6, first 2 shown]
	v_fma_f64 v[72:73], v[138:139], v[172:173], -v[72:73]
	v_fmac_f64_e32 v[58:59], v[82:83], v[90:91]
	v_add_f64 v[180:181], v[2:3], -v[178:179]
	v_add_f64 v[188:189], v[182:183], -v[186:187]
	s_mov_b32 s1, 0x3fe6a09e
	v_add_f64 v[108:109], v[106:107], -v[108:109]
	v_add_f64 v[78:79], v[80:81], -v[78:79]
	v_add_f64 v[136:137], v[122:123], -v[134:135]
	v_add_f64 v[174:175], v[148:149], -v[164:165]
	v_add_f64 v[72:73], v[70:71], -v[72:73]
	v_add_f64 v[76:77], v[54:55], -v[58:59]
	v_fma_f64 v[82:83], v[56:57], 2.0, -v[182:183]
	v_fma_f64 v[56:57], v[62:63], 2.0, -v[74:75]
	;; [unrolled: 1-line block ×5, first 2 shown]
	v_fma_f64 v[190:191], s[0:1], v[180:181], v[188:189]
	v_add_f64 v[98:99], v[108:109], v[78:79]
	s_mov_b32 s11, 0xbfe6a09e
	s_mov_b32 s10, s0
	v_fma_f64 v[176:177], s[0:1], v[136:137], v[174:175]
	v_add_f64 v[88:89], v[104:105], v[86:87]
	v_add_f64 v[114:115], v[72:73], v[94:95]
	;; [unrolled: 1-line block ×3, first 2 shown]
	v_add_f64 v[62:63], v[82:83], -v[56:57]
	v_fma_f64 v[84:85], v[146:147], 2.0, -v[148:149]
	v_fma_f64 v[56:57], v[70:71], 2.0, -v[72:73]
	v_add_f64 v[102:103], v[100:101], -v[68:69]
	v_fma_f64 v[96:97], v[96:97], 2.0, -v[94:95]
	v_fma_f64 v[68:69], v[162:163], 2.0, -v[164:165]
	v_fmac_f64_e32 v[190:191], s[10:11], v[98:99]
	v_fmac_f64_e32 v[176:177], s[10:11], v[88:89]
	v_fma_f64 v[116:117], s[0:1], v[88:89], v[114:115]
	s_mov_b32 s12, 0xa6aea964
	v_add_f64 v[118:119], v[84:85], -v[56:57]
	v_fma_f64 v[56:57], v[124:125], 2.0, -v[134:135]
	v_add_f64 v[104:105], v[96:97], -v[68:69]
	v_fma_f64 v[72:73], v[78:79], 2.0, -v[98:99]
	v_fma_f64 v[142:143], v[76:77], 2.0, -v[92:93]
	s_mov_b32 s14, 0xcf328d46
	v_fmac_f64_e32 v[116:117], s[0:1], v[136:137]
	s_mov_b32 s13, 0xbfd87de2
	v_fma_f64 v[110:111], s[0:1], v[98:99], v[92:93]
	v_fma_f64 v[80:81], v[80:81], 2.0, -v[78:79]
	v_fma_f64 v[4:5], v[4:5], 2.0, -v[178:179]
	v_add_f64 v[120:121], v[90:91], -v[56:57]
	v_fma_f64 v[0:1], v[0:1], 2.0, -v[2:3]
	v_fma_f64 v[132:133], v[182:183], 2.0, -v[188:189]
	;; [unrolled: 1-line block ×4, first 2 shown]
	v_fma_f64 v[144:145], s[10:11], v[72:73], v[142:143]
	v_fma_f64 v[146:147], v[96:97], 2.0, -v[104:105]
	v_fma_f64 v[88:89], v[188:189], 2.0, -v[190:191]
	;; [unrolled: 1-line block ×3, first 2 shown]
	s_mov_b32 s15, 0x3fed906b
	v_fmac_f64_e32 v[110:111], s[0:1], v[180:181]
	v_add_f64 v[4:5], v[80:81], -v[4:5]
	v_fma_f64 v[134:135], s[10:11], v[2:3], v[132:133]
	s_mov_b32 s19, 0xbfed906b
	s_mov_b32 s18, s14
	v_fmac_f64_e32 v[144:145], s[0:1], v[2:3]
	v_fma_f64 v[2:3], v[82:83], 2.0, -v[62:63]
	v_fma_f64 v[82:83], v[90:91], 2.0, -v[120:121]
	v_fma_f64 v[90:91], s[12:13], v[96:97], v[88:89]
	v_fma_f64 v[98:99], v[114:115], 2.0, -v[116:117]
	v_add_f64 v[112:113], v[62:63], -v[4:5]
	v_add_f64 v[124:125], v[118:119], -v[120:121]
	v_fmac_f64_e32 v[90:91], s[18:19], v[98:99]
	v_fma_f64 v[92:93], v[92:93], 2.0, -v[110:111]
	v_add_f64 v[126:127], v[102:103], v[104:105]
	v_fma_f64 v[68:69], v[106:107], 2.0, -v[108:109]
	v_fma_f64 v[108:109], v[54:55], 2.0, -v[76:77]
	;; [unrolled: 1-line block ×8, first 2 shown]
	v_fma_f64 v[88:89], s[12:13], v[98:99], v[92:93]
	v_fma_f64 v[62:63], v[62:63], 2.0, -v[112:113]
	v_fma_f64 v[100:101], v[118:119], 2.0, -v[124:125]
	v_add_f64 v[106:107], v[0:1], -v[68:69]
	v_add_f64 v[128:129], v[108:109], -v[54:55]
	v_fmac_f64_e32 v[88:89], s[14:15], v[96:97]
	v_fma_f64 v[98:99], s[10:11], v[100:101], v[62:63]
	v_fma_f64 v[96:97], v[104:105], 2.0, -v[126:127]
	v_add_f64 v[130:131], v[128:129], v[106:107]
	v_fmac_f64_e32 v[98:99], s[10:11], v[96:97]
	v_fma_f64 v[138:139], v[148:149], 2.0, -v[174:175]
	v_fma_f64 v[102:103], v[62:63], 2.0, -v[98:99]
	;; [unrolled: 1-line block ×3, first 2 shown]
	v_fma_f64 v[122:123], s[10:11], v[78:79], v[138:139]
	v_fma_f64 v[0:1], v[0:1], 2.0, -v[106:107]
	v_fma_f64 v[96:97], s[10:11], v[96:97], v[62:63]
	v_fmac_f64_e32 v[134:135], s[10:11], v[72:73]
	v_fmac_f64_e32 v[122:123], s[10:11], v[86:87]
	v_fma_f64 v[140:141], s[10:11], v[86:87], v[136:137]
	v_add_f64 v[0:1], v[2:3], -v[0:1]
	v_add_f64 v[120:121], v[146:147], -v[82:83]
	v_fma_f64 v[150:151], v[84:85], 2.0, -v[118:119]
	v_fmac_f64_e32 v[96:97], s[0:1], v[100:101]
	v_fmac_f64_e32 v[140:141], s[0:1], v[78:79]
	v_add_f64 v[82:83], v[0:1], -v[120:121]
	v_fma_f64 v[148:149], v[108:109], 2.0, -v[128:129]
	v_add_f64 v[152:153], v[150:151], -v[80:81]
	v_fma_f64 v[100:101], v[62:63], 2.0, -v[96:97]
	v_fma_f64 v[62:63], v[132:133], 2.0, -v[134:135]
	;; [unrolled: 1-line block ×3, first 2 shown]
	v_fma_f64 v[64:65], s[14:15], v[116:117], v[110:111]
	s_mov_b32 s17, 0x3fd87de2
	s_mov_b32 s16, s12
	v_fma_f64 v[86:87], v[0:1], 2.0, -v[82:83]
	v_fma_f64 v[106:107], s[18:19], v[108:109], v[62:63]
	v_fma_f64 v[104:105], v[136:137], 2.0, -v[140:141]
	v_fma_f64 v[0:1], v[2:3], 2.0, -v[0:1]
	;; [unrolled: 1-line block ×3, first 2 shown]
	v_fmac_f64_e32 v[64:65], s[16:17], v[176:177]
	v_fma_f64 v[56:57], s[0:1], v[124:125], v[112:113]
	v_add_f64 v[4:5], v[148:149], -v[4:5]
	v_fmac_f64_e32 v[106:107], s[12:13], v[104:105]
	v_add_f64 v[114:115], v[0:1], -v[2:3]
	v_fma_f64 v[58:59], v[110:111], 2.0, -v[64:65]
	v_fmac_f64_e32 v[56:57], s[10:11], v[126:127]
	v_fma_f64 v[110:111], v[62:63], 2.0, -v[106:107]
	v_fma_f64 v[62:63], v[142:143], 2.0, -v[144:145]
	;; [unrolled: 1-line block ×5, first 2 shown]
	v_fma_f64 v[66:67], s[14:15], v[176:177], v[190:191]
	v_fma_f64 v[70:71], v[112:113], 2.0, -v[56:57]
	v_fma_f64 v[54:55], s[0:1], v[126:127], v[130:131]
	v_fma_f64 v[74:75], s[16:17], v[122:123], v[134:135]
	;; [unrolled: 1-line block ×4, first 2 shown]
	v_add_f64 v[112:113], v[0:1], -v[2:3]
	v_fmac_f64_e32 v[66:67], s[12:13], v[116:117]
	v_fmac_f64_e32 v[54:55], s[0:1], v[124:125]
	;; [unrolled: 1-line block ×4, first 2 shown]
	v_add_f64 v[80:81], v[4:5], v[152:153]
	v_fmac_f64_e32 v[104:105], s[16:17], v[108:109]
	v_fma_f64 v[116:117], v[0:1], 2.0, -v[112:113]
	v_fma_f64 v[60:61], v[190:191], 2.0, -v[66:67]
	;; [unrolled: 1-line block ×8, first 2 shown]
	ds_write_b128 v227, v[116:119]
	ds_write_b128 v226, v[108:111] offset:416
	ds_write_b128 v226, v[100:103] offset:832
	;; [unrolled: 1-line block ×15, first 2 shown]
.LBB0_17:
	s_or_b64 exec, exec, s[8:9]
	s_waitcnt lgkmcnt(0)
	; wave barrier
	s_waitcnt lgkmcnt(0)
	ds_read_b128 v[54:57], v227
	ds_read_b128 v[58:61], v226 offset:512
	v_mad_u64_u32 v[2:3], s[0:1], s6, v206, 0
	v_mov_b32_e32 v4, v3
	v_accvgpr_read_b32 v67, a3
	v_mad_u64_u32 v[4:5], s[0:1], s7, v206, v[4:5]
	v_accvgpr_read_b32 v66, a2
	v_mov_b32_e32 v3, v4
	v_accvgpr_read_b32 v65, a1
	v_accvgpr_read_b32 v64, a0
	s_waitcnt lgkmcnt(1)
	v_mul_f64 v[4:5], v[66:67], v[56:57]
	s_mov_b32 s0, 0x13b13b14
	v_fmac_f64_e32 v[4:5], v[64:65], v[54:55]
	s_mov_b32 s1, 0x3f63b13b
	v_mul_f64 v[62:63], v[4:5], s[0:1]
	v_mul_f64 v[4:5], v[66:67], v[54:55]
	v_fma_f64 v[4:5], v[64:65], v[56:57], -v[4:5]
	v_mov_b32_e32 v0, s2
	v_mov_b32_e32 v1, s3
	v_mul_f64 v[64:65], v[4:5], s[0:1]
	v_mad_u64_u32 v[4:5], s[2:3], s4, v207, 0
	v_mov_b32_e32 v54, v5
	v_mad_u64_u32 v[54:55], s[2:3], s5, v207, v[54:55]
	v_mov_b32_e32 v5, v54
	v_lshl_add_u64 v[0:1], v[2:3], 4, v[0:1]
	v_lshl_add_u64 v[0:1], v[4:5], 4, v[0:1]
	s_waitcnt lgkmcnt(0)
	v_mul_f64 v[2:3], v[24:25], v[60:61]
	v_mul_f64 v[4:5], v[24:25], v[58:59]
	v_fmac_f64_e32 v[2:3], v[22:23], v[58:59]
	v_fma_f64 v[4:5], v[22:23], v[60:61], -v[4:5]
	ds_read_b128 v[22:25], v226 offset:1024
	s_lshl_b64 s[2:3], s[4:5], 9
	global_store_dwordx4 v[0:1], v[62:65], off
	v_mul_f64 v[2:3], v[2:3], s[0:1]
	v_mul_f64 v[4:5], v[4:5], s[0:1]
	v_lshl_add_u64 v[0:1], v[0:1], 0, s[2:3]
	global_store_dwordx4 v[0:1], v[2:5], off
	ds_read_b128 v[2:5], v226 offset:1536
	s_waitcnt lgkmcnt(1)
	v_mul_f64 v[54:55], v[8:9], v[24:25]
	v_mul_f64 v[8:9], v[8:9], v[22:23]
	v_fmac_f64_e32 v[54:55], v[6:7], v[22:23]
	v_fma_f64 v[6:7], v[6:7], v[24:25], -v[8:9]
	v_mul_f64 v[56:57], v[6:7], s[0:1]
	s_waitcnt lgkmcnt(0)
	v_mul_f64 v[6:7], v[28:29], v[4:5]
	v_fmac_f64_e32 v[6:7], v[26:27], v[2:3]
	v_mul_f64 v[2:3], v[28:29], v[2:3]
	v_fma_f64 v[8:9], v[26:27], v[4:5], -v[2:3]
	ds_read_b128 v[2:5], v226 offset:2048
	v_mul_f64 v[54:55], v[54:55], s[0:1]
	v_lshl_add_u64 v[0:1], v[0:1], 0, s[2:3]
	global_store_dwordx4 v[0:1], v[54:57], off
	v_mul_f64 v[6:7], v[6:7], s[0:1]
	v_mul_f64 v[8:9], v[8:9], s[0:1]
	v_lshl_add_u64 v[0:1], v[0:1], 0, s[2:3]
	global_store_dwordx4 v[0:1], v[6:9], off
	ds_read_b128 v[6:9], v226 offset:2560
	s_waitcnt lgkmcnt(1)
	v_mul_f64 v[22:23], v[12:13], v[4:5]
	v_fmac_f64_e32 v[22:23], v[10:11], v[2:3]
	v_mul_f64 v[2:3], v[12:13], v[2:3]
	v_fma_f64 v[2:3], v[10:11], v[4:5], -v[2:3]
	ds_read_b128 v[10:13], v229 offset:3072
	v_mul_f64 v[24:25], v[2:3], s[0:1]
	s_waitcnt lgkmcnt(1)
	v_mul_f64 v[2:3], v[16:17], v[8:9]
	v_mul_f64 v[4:5], v[16:17], v[6:7]
	v_lshl_add_u64 v[0:1], v[0:1], 0, s[2:3]
	v_fmac_f64_e32 v[2:3], v[14:15], v[6:7]
	v_fma_f64 v[4:5], v[14:15], v[8:9], -v[4:5]
	v_mul_f64 v[22:23], v[22:23], s[0:1]
	v_mul_f64 v[2:3], v[2:3], s[0:1]
	;; [unrolled: 1-line block ×3, first 2 shown]
	v_lshl_add_u64 v[8:9], v[0:1], 0, s[2:3]
	global_store_dwordx4 v[0:1], v[22:25], off
	global_store_dwordx4 v[8:9], v[2:5], off
	s_waitcnt lgkmcnt(0)
	v_mul_f64 v[0:1], v[36:37], v[12:13]
	ds_read_b128 v[4:7], v226 offset:3584
	v_mul_f64 v[2:3], v[36:37], v[10:11]
	v_fmac_f64_e32 v[0:1], v[34:35], v[10:11]
	v_fma_f64 v[2:3], v[34:35], v[12:13], -v[2:3]
	v_mul_f64 v[0:1], v[0:1], s[0:1]
	v_mul_f64 v[2:3], v[2:3], s[0:1]
	v_lshl_add_u64 v[12:13], v[8:9], 0, s[2:3]
	global_store_dwordx4 v[12:13], v[0:3], off
	ds_read_b128 v[0:3], v226 offset:4096
	s_waitcnt lgkmcnt(1)
	v_mul_f64 v[8:9], v[20:21], v[6:7]
	v_fmac_f64_e32 v[8:9], v[18:19], v[4:5]
	v_mul_f64 v[4:5], v[20:21], v[4:5]
	v_fma_f64 v[4:5], v[18:19], v[6:7], -v[4:5]
	v_mul_f64 v[10:11], v[4:5], s[0:1]
	s_waitcnt lgkmcnt(0)
	v_mul_f64 v[4:5], v[40:41], v[2:3]
	v_fmac_f64_e32 v[4:5], v[38:39], v[0:1]
	v_mul_f64 v[0:1], v[40:41], v[0:1]
	v_fma_f64 v[6:7], v[38:39], v[2:3], -v[0:1]
	ds_read_b128 v[0:3], v226 offset:4608
	v_mul_f64 v[8:9], v[8:9], s[0:1]
	v_lshl_add_u64 v[12:13], v[12:13], 0, s[2:3]
	global_store_dwordx4 v[12:13], v[8:11], off
	v_mul_f64 v[4:5], v[4:5], s[0:1]
	v_mul_f64 v[6:7], v[6:7], s[0:1]
	v_lshl_add_u64 v[12:13], v[12:13], 0, s[2:3]
	global_store_dwordx4 v[12:13], v[4:7], off
	ds_read_b128 v[4:7], v226 offset:5120
	s_waitcnt lgkmcnt(1)
	v_mul_f64 v[8:9], v[32:33], v[2:3]
	v_fmac_f64_e32 v[8:9], v[30:31], v[0:1]
	v_mul_f64 v[0:1], v[32:33], v[0:1]
	v_fma_f64 v[0:1], v[30:31], v[2:3], -v[0:1]
	v_mul_f64 v[10:11], v[0:1], s[0:1]
	s_waitcnt lgkmcnt(0)
	v_mul_f64 v[0:1], v[48:49], v[6:7]
	v_mul_f64 v[2:3], v[48:49], v[4:5]
	v_fmac_f64_e32 v[0:1], v[46:47], v[4:5]
	v_fma_f64 v[2:3], v[46:47], v[6:7], -v[2:3]
	ds_read_b128 v[4:7], v226 offset:5632
	v_mul_f64 v[8:9], v[8:9], s[0:1]
	v_lshl_add_u64 v[12:13], v[12:13], 0, s[2:3]
	global_store_dwordx4 v[12:13], v[8:11], off
	v_mul_f64 v[0:1], v[0:1], s[0:1]
	v_mul_f64 v[2:3], v[2:3], s[0:1]
	v_lshl_add_u64 v[12:13], v[12:13], 0, s[2:3]
	global_store_dwordx4 v[12:13], v[0:3], off
	ds_read_b128 v[0:3], v226 offset:6144
	s_waitcnt lgkmcnt(1)
	v_mul_f64 v[8:9], v[44:45], v[6:7]
	v_fmac_f64_e32 v[8:9], v[42:43], v[4:5]
	v_mul_f64 v[4:5], v[44:45], v[4:5]
	v_fma_f64 v[4:5], v[42:43], v[6:7], -v[4:5]
	v_mul_f64 v[10:11], v[4:5], s[0:1]
	s_waitcnt lgkmcnt(0)
	v_mul_f64 v[4:5], v[52:53], v[2:3]
	v_fmac_f64_e32 v[4:5], v[50:51], v[0:1]
	v_mul_f64 v[0:1], v[52:53], v[0:1]
	v_lshl_add_u64 v[12:13], v[12:13], 0, s[2:3]
	v_fma_f64 v[0:1], v[50:51], v[2:3], -v[0:1]
	v_mul_f64 v[8:9], v[8:9], s[0:1]
	v_mul_f64 v[4:5], v[4:5], s[0:1]
	;; [unrolled: 1-line block ×3, first 2 shown]
	v_lshl_add_u64 v[0:1], v[12:13], 0, s[2:3]
	global_store_dwordx4 v[12:13], v[8:11], off
	global_store_dwordx4 v[0:1], v[4:7], off
.LBB0_18:
	s_endpgm
	.section	.rodata,"a",@progbits
	.p2align	6, 0x0
	.amdhsa_kernel bluestein_single_fwd_len416_dim1_dp_op_CI_CI
		.amdhsa_group_segment_fixed_size 13312
		.amdhsa_private_segment_fixed_size 0
		.amdhsa_kernarg_size 104
		.amdhsa_user_sgpr_count 2
		.amdhsa_user_sgpr_dispatch_ptr 0
		.amdhsa_user_sgpr_queue_ptr 0
		.amdhsa_user_sgpr_kernarg_segment_ptr 1
		.amdhsa_user_sgpr_dispatch_id 0
		.amdhsa_user_sgpr_kernarg_preload_length 0
		.amdhsa_user_sgpr_kernarg_preload_offset 0
		.amdhsa_user_sgpr_private_segment_size 0
		.amdhsa_uses_dynamic_stack 0
		.amdhsa_enable_private_segment 0
		.amdhsa_system_sgpr_workgroup_id_x 1
		.amdhsa_system_sgpr_workgroup_id_y 0
		.amdhsa_system_sgpr_workgroup_id_z 0
		.amdhsa_system_sgpr_workgroup_info 0
		.amdhsa_system_vgpr_workitem_id 0
		.amdhsa_next_free_vgpr 269
		.amdhsa_next_free_sgpr 46
		.amdhsa_accum_offset 256
		.amdhsa_reserve_vcc 1
		.amdhsa_float_round_mode_32 0
		.amdhsa_float_round_mode_16_64 0
		.amdhsa_float_denorm_mode_32 3
		.amdhsa_float_denorm_mode_16_64 3
		.amdhsa_dx10_clamp 1
		.amdhsa_ieee_mode 1
		.amdhsa_fp16_overflow 0
		.amdhsa_tg_split 0
		.amdhsa_exception_fp_ieee_invalid_op 0
		.amdhsa_exception_fp_denorm_src 0
		.amdhsa_exception_fp_ieee_div_zero 0
		.amdhsa_exception_fp_ieee_overflow 0
		.amdhsa_exception_fp_ieee_underflow 0
		.amdhsa_exception_fp_ieee_inexact 0
		.amdhsa_exception_int_div_zero 0
	.end_amdhsa_kernel
	.text
.Lfunc_end0:
	.size	bluestein_single_fwd_len416_dim1_dp_op_CI_CI, .Lfunc_end0-bluestein_single_fwd_len416_dim1_dp_op_CI_CI
                                        ; -- End function
	.section	.AMDGPU.csdata,"",@progbits
; Kernel info:
; codeLenInByte = 16328
; NumSgprs: 52
; NumVgprs: 256
; NumAgprs: 13
; TotalNumVgprs: 269
; ScratchSize: 0
; MemoryBound: 0
; FloatMode: 240
; IeeeMode: 1
; LDSByteSize: 13312 bytes/workgroup (compile time only)
; SGPRBlocks: 6
; VGPRBlocks: 33
; NumSGPRsForWavesPerEU: 52
; NumVGPRsForWavesPerEU: 269
; AccumOffset: 256
; Occupancy: 1
; WaveLimiterHint : 1
; COMPUTE_PGM_RSRC2:SCRATCH_EN: 0
; COMPUTE_PGM_RSRC2:USER_SGPR: 2
; COMPUTE_PGM_RSRC2:TRAP_HANDLER: 0
; COMPUTE_PGM_RSRC2:TGID_X_EN: 1
; COMPUTE_PGM_RSRC2:TGID_Y_EN: 0
; COMPUTE_PGM_RSRC2:TGID_Z_EN: 0
; COMPUTE_PGM_RSRC2:TIDIG_COMP_CNT: 0
; COMPUTE_PGM_RSRC3_GFX90A:ACCUM_OFFSET: 63
; COMPUTE_PGM_RSRC3_GFX90A:TG_SPLIT: 0
	.text
	.p2alignl 6, 3212836864
	.fill 256, 4, 3212836864
	.type	__hip_cuid_d59f7b259b786b71,@object ; @__hip_cuid_d59f7b259b786b71
	.section	.bss,"aw",@nobits
	.globl	__hip_cuid_d59f7b259b786b71
__hip_cuid_d59f7b259b786b71:
	.byte	0                               ; 0x0
	.size	__hip_cuid_d59f7b259b786b71, 1

	.ident	"AMD clang version 19.0.0git (https://github.com/RadeonOpenCompute/llvm-project roc-6.4.0 25133 c7fe45cf4b819c5991fe208aaa96edf142730f1d)"
	.section	".note.GNU-stack","",@progbits
	.addrsig
	.addrsig_sym __hip_cuid_d59f7b259b786b71
	.amdgpu_metadata
---
amdhsa.kernels:
  - .agpr_count:     13
    .args:
      - .actual_access:  read_only
        .address_space:  global
        .offset:         0
        .size:           8
        .value_kind:     global_buffer
      - .actual_access:  read_only
        .address_space:  global
        .offset:         8
        .size:           8
        .value_kind:     global_buffer
      - .actual_access:  read_only
        .address_space:  global
        .offset:         16
        .size:           8
        .value_kind:     global_buffer
      - .actual_access:  read_only
        .address_space:  global
        .offset:         24
        .size:           8
        .value_kind:     global_buffer
      - .actual_access:  read_only
        .address_space:  global
        .offset:         32
        .size:           8
        .value_kind:     global_buffer
      - .offset:         40
        .size:           8
        .value_kind:     by_value
      - .address_space:  global
        .offset:         48
        .size:           8
        .value_kind:     global_buffer
      - .address_space:  global
        .offset:         56
        .size:           8
        .value_kind:     global_buffer
      - .address_space:  global
        .offset:         64
        .size:           8
        .value_kind:     global_buffer
      - .address_space:  global
        .offset:         72
        .size:           8
        .value_kind:     global_buffer
      - .offset:         80
        .size:           4
        .value_kind:     by_value
      - .address_space:  global
        .offset:         88
        .size:           8
        .value_kind:     global_buffer
      - .address_space:  global
        .offset:         96
        .size:           8
        .value_kind:     global_buffer
    .group_segment_fixed_size: 13312
    .kernarg_segment_align: 8
    .kernarg_segment_size: 104
    .language:       OpenCL C
    .language_version:
      - 2
      - 0
    .max_flat_workgroup_size: 64
    .name:           bluestein_single_fwd_len416_dim1_dp_op_CI_CI
    .private_segment_fixed_size: 0
    .sgpr_count:     52
    .sgpr_spill_count: 0
    .symbol:         bluestein_single_fwd_len416_dim1_dp_op_CI_CI.kd
    .uniform_work_group_size: 1
    .uses_dynamic_stack: false
    .vgpr_count:     269
    .vgpr_spill_count: 0
    .wavefront_size: 64
amdhsa.target:   amdgcn-amd-amdhsa--gfx950
amdhsa.version:
  - 1
  - 2
...

	.end_amdgpu_metadata
